;; amdgpu-corpus repo=ROCm/rocFFT kind=compiled arch=gfx1201 opt=O3
	.text
	.amdgcn_target "amdgcn-amd-amdhsa--gfx1201"
	.amdhsa_code_object_version 6
	.protected	bluestein_single_fwd_len1001_dim1_half_op_CI_CI ; -- Begin function bluestein_single_fwd_len1001_dim1_half_op_CI_CI
	.globl	bluestein_single_fwd_len1001_dim1_half_op_CI_CI
	.p2align	8
	.type	bluestein_single_fwd_len1001_dim1_half_op_CI_CI,@function
bluestein_single_fwd_len1001_dim1_half_op_CI_CI: ; @bluestein_single_fwd_len1001_dim1_half_op_CI_CI
; %bb.0:
	s_load_b128 s[8:11], s[0:1], 0x28
	v_mul_u32_u24_e32 v1, 0x2d1, v0
	v_mov_b32_e32 v17, 0
	s_mov_b32 s2, exec_lo
	s_delay_alu instid0(VALU_DEP_2) | instskip(NEXT) | instid1(VALU_DEP_1)
	v_lshrrev_b32_e32 v1, 16, v1
	v_lshl_add_u32 v16, ttmp9, 1, v1
	s_wait_kmcnt 0x0
	s_delay_alu instid0(VALU_DEP_1)
	v_cmpx_gt_u64_e64 s[8:9], v[16:17]
	s_cbranch_execz .LBB0_23
; %bb.1:
	v_mul_lo_u16 v2, 0x5b, v1
	s_clause 0x1
	s_load_b64 s[20:21], s[0:1], 0x0
	s_load_b64 s[8:9], s[0:1], 0x38
	v_and_b32_e32 v1, 1, v1
	v_sub_nc_u16 v0, v0, v2
	s_delay_alu instid0(VALU_DEP_2) | instskip(NEXT) | instid1(VALU_DEP_2)
	v_cmp_eq_u32_e32 vcc_lo, 1, v1
	v_and_b32_e32 v42, 0xffff, v0
	v_cndmask_b32_e64 v27, 0, 0x3e9, vcc_lo
	v_cmp_gt_u16_e32 vcc_lo, 0x4d, v0
	s_delay_alu instid0(VALU_DEP_3) | instskip(NEXT) | instid1(VALU_DEP_3)
	v_lshlrev_b32_e32 v41, 2, v42
	v_lshlrev_b32_e32 v43, 2, v27
	s_and_saveexec_b32 s3, vcc_lo
	s_cbranch_execz .LBB0_3
; %bb.2:
	s_load_b64 s[4:5], s[0:1], 0x18
	s_wait_kmcnt 0x0
	s_load_b128 s[4:7], s[4:5], 0x0
	s_wait_kmcnt 0x0
	v_mad_co_u64_u32 v[0:1], null, s6, v16, 0
	v_mad_co_u64_u32 v[2:3], null, s4, v42, 0
	s_delay_alu instid0(VALU_DEP_1) | instskip(NEXT) | instid1(VALU_DEP_1)
	v_mad_co_u64_u32 v[4:5], null, s7, v16, v[1:2]
	v_mad_co_u64_u32 v[5:6], null, s5, v42, v[3:4]
	v_mov_b32_e32 v1, v4
	s_mul_u64 s[4:5], s[4:5], 0x134
	s_delay_alu instid0(VALU_DEP_1) | instskip(NEXT) | instid1(VALU_DEP_3)
	v_lshlrev_b64_e32 v[0:1], 2, v[0:1]
	v_mov_b32_e32 v3, v5
	s_clause 0x7
	global_load_b32 v4, v41, s[20:21]
	global_load_b32 v5, v41, s[20:21] offset:308
	global_load_b32 v6, v41, s[20:21] offset:616
	;; [unrolled: 1-line block ×7, first 2 shown]
	v_add_co_u32 v0, s2, s10, v0
	v_lshlrev_b64_e32 v[2:3], 2, v[2:3]
	v_add_co_ci_u32_e64 v1, s2, s11, v1, s2
	s_delay_alu instid0(VALU_DEP_2) | instskip(SKIP_1) | instid1(VALU_DEP_2)
	v_add_co_u32 v0, s2, v0, v2
	s_wait_alu 0xf1ff
	v_add_co_ci_u32_e64 v1, s2, v1, v3, s2
	global_load_b32 v12, v[0:1], off
	s_wait_alu 0xfffe
	v_add_co_u32 v0, s2, v0, s4
	s_wait_alu 0xf1ff
	v_add_co_ci_u32_e64 v1, s2, s5, v1, s2
	s_clause 0x4
	global_load_b32 v13, v41, s[20:21] offset:2464
	global_load_b32 v14, v41, s[20:21] offset:2772
	;; [unrolled: 1-line block ×5, first 2 shown]
	v_add_co_u32 v2, s2, v0, s4
	s_wait_alu 0xf1ff
	v_add_co_ci_u32_e64 v3, s2, s5, v1, s2
	global_load_b32 v19, v[0:1], off
	v_add_co_u32 v0, s2, v2, s4
	s_wait_alu 0xf1ff
	v_add_co_ci_u32_e64 v1, s2, s5, v3, s2
	s_clause 0x1
	global_load_b32 v20, v[2:3], off
	global_load_b32 v21, v[0:1], off
	v_add_co_u32 v0, s2, v0, s4
	s_wait_alu 0xf1ff
	v_add_co_ci_u32_e64 v1, s2, s5, v1, s2
	s_delay_alu instid0(VALU_DEP_2) | instskip(SKIP_1) | instid1(VALU_DEP_2)
	v_add_co_u32 v2, s2, v0, s4
	s_wait_alu 0xf1ff
	v_add_co_ci_u32_e64 v3, s2, s5, v1, s2
	global_load_b32 v22, v[0:1], off
	v_add_co_u32 v0, s2, v2, s4
	s_wait_alu 0xf1ff
	v_add_co_ci_u32_e64 v1, s2, s5, v3, s2
	global_load_b32 v23, v[2:3], off
	global_load_b32 v24, v[0:1], off
	v_add_co_u32 v0, s2, v0, s4
	s_wait_alu 0xf1ff
	v_add_co_ci_u32_e64 v1, s2, s5, v1, s2
	s_delay_alu instid0(VALU_DEP_2) | instskip(SKIP_1) | instid1(VALU_DEP_2)
	v_add_co_u32 v2, s2, v0, s4
	s_wait_alu 0xf1ff
	v_add_co_ci_u32_e64 v3, s2, s5, v1, s2
	global_load_b32 v25, v[0:1], off
	v_add_co_u32 v0, s2, v2, s4
	s_wait_alu 0xf1ff
	v_add_co_ci_u32_e64 v1, s2, s5, v3, s2
	global_load_b32 v26, v[2:3], off
	;; [unrolled: 4-line block ×5, first 2 shown]
	global_load_b32 v1, v[2:3], off
	v_lshl_add_u32 v3, v42, 2, v43
	v_add_nc_u32_e32 v2, v43, v41
	s_delay_alu instid0(VALU_DEP_1)
	v_add_nc_u32_e32 v30, 0x200, v2
	v_add_nc_u32_e32 v31, 0x400, v2
	;; [unrolled: 1-line block ×4, first 2 shown]
	s_wait_loadcnt 0x19
	v_lshrrev_b32_e32 v34, 16, v4
	s_wait_loadcnt 0x18
	v_lshrrev_b32_e32 v35, 16, v5
	;; [unrolled: 2-line block ×9, first 2 shown]
	v_mul_f16_e32 v49, v34, v12
	s_wait_loadcnt 0x10
	v_lshrrev_b32_e32 v45, 16, v13
	s_wait_loadcnt 0xf
	v_lshrrev_b32_e32 v47, 16, v14
	;; [unrolled: 2-line block ×3, first 2 shown]
	v_mul_f16_e32 v34, v34, v46
	v_fma_f16 v46, v4, v46, -v49
	s_wait_loadcnt 0xd
	v_lshrrev_b32_e32 v50, 16, v17
	s_wait_loadcnt 0xc
	v_lshrrev_b32_e32 v52, 16, v18
	;; [unrolled: 2-line block ×3, first 2 shown]
	v_mul_f16_e32 v49, v35, v19
	v_fmac_f16_e32 v34, v4, v12
	s_delay_alu instid0(VALU_DEP_3)
	v_mul_f16_e32 v4, v35, v51
	s_wait_loadcnt 0xa
	v_lshrrev_b32_e32 v12, 16, v20
	v_mul_f16_e32 v35, v36, v20
	v_fma_f16 v49, v5, v51, -v49
	v_pack_b32_f16 v34, v34, v46
	v_fmac_f16_e32 v4, v5, v19
	v_mul_f16_e32 v5, v36, v12
	s_wait_loadcnt 0x9
	v_lshrrev_b32_e32 v19, 16, v21
	v_fma_f16 v12, v6, v12, -v35
	v_mul_f16_e32 v35, v37, v21
	ds_store_b32 v3, v34
	v_pack_b32_f16 v3, v4, v49
	v_fmac_f16_e32 v5, v6, v20
	v_mul_f16_e32 v4, v37, v19
	s_wait_loadcnt 0x8
	v_lshrrev_b32_e32 v6, 16, v22
	v_mul_f16_e32 v20, v38, v22
	v_fma_f16 v19, v7, v19, -v35
	v_pack_b32_f16 v5, v5, v12
	v_fmac_f16_e32 v4, v7, v21
	v_mul_f16_e32 v7, v38, v6
	s_wait_loadcnt 0x7
	v_lshrrev_b32_e32 v12, 16, v23
	v_fma_f16 v6, v8, v6, -v20
	v_mul_f16_e32 v20, v39, v23
	ds_store_2addr_b32 v2, v3, v5 offset0:77 offset1:154
	v_pack_b32_f16 v3, v4, v19
	v_fmac_f16_e32 v7, v8, v22
	v_mul_f16_e32 v4, v39, v12
	s_wait_loadcnt 0x6
	v_lshrrev_b32_e32 v5, 16, v24
	v_fma_f16 v8, v9, v12, -v20
	v_mul_f16_e32 v12, v40, v24
	v_pack_b32_f16 v6, v7, v6
	v_fmac_f16_e32 v4, v9, v23
	v_mul_f16_e32 v7, v40, v5
	s_wait_loadcnt 0x5
	v_lshrrev_b32_e32 v9, 16, v25
	v_mul_f16_e32 v19, v44, v25
	v_fma_f16 v5, v10, v5, -v12
	v_pack_b32_f16 v4, v4, v8
	v_fmac_f16_e32 v7, v10, v24
	v_mul_f16_e32 v8, v44, v9
	s_wait_loadcnt 0x4
	v_lshrrev_b32_e32 v10, 16, v26
	v_fma_f16 v9, v11, v9, -v19
	v_mul_f16_e32 v12, v45, v26
	v_pack_b32_f16 v5, v7, v5
	v_fmac_f16_e32 v8, v11, v25
	s_wait_loadcnt 0x3
	v_lshrrev_b32_e32 v7, 16, v28
	v_mul_f16_e32 v11, v45, v10
	v_fma_f16 v10, v13, v10, -v12
	v_mul_f16_e32 v12, v47, v28
	v_pack_b32_f16 v8, v8, v9
	v_mul_f16_e32 v9, v47, v7
	v_fmac_f16_e32 v11, v13, v26
	s_wait_loadcnt 0x2
	v_lshrrev_b32_e32 v13, 16, v29
	v_fma_f16 v7, v14, v7, -v12
	v_mul_f16_e32 v12, v48, v29
	v_fmac_f16_e32 v9, v14, v28
	s_wait_loadcnt 0x1
	v_lshrrev_b32_e32 v14, 16, v0
	s_wait_loadcnt 0x0
	v_lshrrev_b32_e32 v20, 16, v1
	v_mul_f16_e32 v19, v48, v13
	v_fma_f16 v12, v15, v13, -v12
	v_mul_f16_e32 v13, v50, v0
	v_mul_f16_e32 v21, v50, v14
	;; [unrolled: 1-line block ×4, first 2 shown]
	v_fmac_f16_e32 v19, v15, v29
	v_fma_f16 v13, v17, v14, -v13
	v_fmac_f16_e32 v21, v17, v0
	v_fma_f16 v0, v18, v20, -v22
	v_fmac_f16_e32 v23, v18, v1
	v_pack_b32_f16 v1, v11, v10
	v_pack_b32_f16 v7, v9, v7
	;; [unrolled: 1-line block ×5, first 2 shown]
	v_add_nc_u32_e32 v2, 0xc00, v2
	ds_store_2addr_b32 v30, v3, v6 offset0:103 offset1:180
	ds_store_2addr_b32 v31, v4, v5 offset0:129 offset1:206
	;; [unrolled: 1-line block ×5, first 2 shown]
.LBB0_3:
	s_or_b32 exec_lo, exec_lo, s3
	global_wb scope:SCOPE_SE
	s_wait_dscnt 0x0
	s_wait_kmcnt 0x0
	s_barrier_signal -1
	s_barrier_wait -1
	global_inv scope:SCOPE_SE
                                        ; implicit-def: $vgpr0
                                        ; implicit-def: $vgpr2
                                        ; implicit-def: $vgpr21
                                        ; implicit-def: $vgpr19
                                        ; implicit-def: $vgpr20
                                        ; implicit-def: $vgpr22
                                        ; implicit-def: $vgpr5
                                        ; implicit-def: $vgpr23
                                        ; implicit-def: $vgpr24
                                        ; implicit-def: $vgpr7
                                        ; implicit-def: $vgpr26
                                        ; implicit-def: $vgpr28
                                        ; implicit-def: $vgpr15
                                        ; implicit-def: $vgpr29
                                        ; implicit-def: $vgpr30
                                        ; implicit-def: $vgpr18
                                        ; implicit-def: $vgpr31
                                        ; implicit-def: $vgpr32
                                        ; implicit-def: $vgpr34
	s_and_saveexec_b32 s2, vcc_lo
	s_cbranch_execz .LBB0_5
; %bb.4:
	v_lshl_add_u32 v8, v27, 2, v41
	s_delay_alu instid0(VALU_DEP_1)
	v_add_nc_u32_e32 v2, 0x400, v8
	v_add_nc_u32_e32 v3, 0x600, v8
	v_add_nc_u32_e32 v4, 0x800, v8
	ds_load_2addr_b32 v[0:1], v8 offset1:77
	ds_load_2addr_b32 v[17:18], v8 offset0:154 offset1:231
	ds_load_2addr_b32 v[14:15], v2 offset0:52 offset1:129
	v_add_nc_u32_e32 v2, 0xc00, v8
	ds_load_2addr_b32 v[6:7], v3 offset0:78 offset1:155
	ds_load_2addr_b32 v[4:5], v4 offset0:104 offset1:181
	;; [unrolled: 1-line block ×3, first 2 shown]
	ds_load_b32 v19, v8 offset:3696
	s_wait_dscnt 0x6
	v_lshrrev_b32_e32 v34, 16, v1
	s_wait_dscnt 0x5
	v_lshrrev_b32_e32 v32, 16, v17
	v_lshrrev_b32_e32 v31, 16, v18
	s_wait_dscnt 0x4
	v_lshrrev_b32_e32 v30, 16, v14
	v_lshrrev_b32_e32 v29, 16, v15
	s_wait_dscnt 0x3
	v_lshrrev_b32_e32 v28, 16, v6
	v_lshrrev_b32_e32 v26, 16, v7
	s_wait_dscnt 0x2
	v_lshrrev_b32_e32 v24, 16, v4
	v_lshrrev_b32_e32 v23, 16, v5
	s_wait_dscnt 0x1
	v_lshrrev_b32_e32 v21, 16, v2
	v_lshrrev_b32_e32 v22, 16, v3
	s_wait_dscnt 0x0
	v_lshrrev_b32_e32 v20, 16, v19
.LBB0_5:
	s_wait_alu 0xfffe
	s_or_b32 exec_lo, exec_lo, s2
	s_delay_alu instid0(VALU_DEP_1)
	v_sub_f16_e32 v8, v34, v20
	v_sub_f16_e32 v25, v1, v19
	v_add_f16_e32 v79, v19, v1
	v_add_f16_e32 v81, v20, v34
	v_lshrrev_b32_e32 v40, 16, v0
	v_mul_f16_e32 v51, 0xbbf1, v8
	v_mul_f16_e32 v49, 0xba95, v25
	;; [unrolled: 1-line block ×4, first 2 shown]
	v_sub_f16_e32 v37, v17, v3
	v_fmamk_f16 v13, v79, 0x2fb7, v51
	v_fma_f16 v12, v81, 0x388b, -v49
	v_fmamk_f16 v35, v79, 0xb5ac, v56
	v_fma_f16 v10, v81, 0x3b15, -v44
	v_add_f16_e32 v73, v22, v32
	v_mul_f16_e32 v47, 0xba95, v37
	v_add_f16_e32 v36, v12, v40
	v_add_f16_e32 v12, v13, v0
	v_add_f16_e32 v13, v35, v0
	v_sub_f16_e32 v35, v32, v22
	v_mul_f16_e32 v39, 0xb770, v8
	v_add_f16_e32 v10, v10, v40
	v_add_f16_e32 v75, v3, v17
	v_fma_f16 v50, v73, 0x388b, -v47
	v_mul_f16_e32 v57, 0xb3a8, v35
	v_mul_f16_e32 v48, 0xba95, v8
	v_fmamk_f16 v9, v79, 0x3b15, v39
	v_mul_f16_e32 v74, 0xb3a8, v8
	v_mul_f16_e32 v45, 0xba95, v35
	v_add_f16_e32 v83, v50, v10
	v_fmamk_f16 v10, v75, 0xbbc4, v57
	v_fmamk_f16 v11, v79, 0x388b, v48
	v_add_f16_e32 v9, v9, v0
	v_mul_f16_e32 v66, 0xb94e, v8
	v_fmamk_f16 v38, v79, 0xbbc4, v74
	v_fmamk_f16 v46, v75, 0x388b, v45
	v_mul_f16_e32 v52, 0xbb7b, v35
	v_mul_f16_e32 v62, 0x394e, v35
	v_add_f16_e32 v10, v10, v12
	v_sub_f16_e32 v12, v31, v21
	v_mul_f16_e32 v85, 0x3770, v35
	v_add_f16_e32 v11, v11, v0
	v_fmamk_f16 v8, v79, 0xb9fd, v66
	v_add_f16_e32 v38, v38, v0
	v_add_f16_e32 v9, v46, v9
	v_fmamk_f16 v46, v75, 0xb5ac, v52
	v_mul_f16_e32 v70, 0x3bf1, v35
	v_fmamk_f16 v50, v75, 0xb9fd, v62
	v_add_f16_e32 v78, v2, v18
	v_fmamk_f16 v35, v75, 0x3b15, v85
	v_mul_f16_e32 v58, 0xb3a8, v12
	v_add_f16_e32 v8, v8, v0
	v_add_f16_e32 v11, v46, v11
	v_fmamk_f16 v53, v75, 0x2fb7, v70
	v_add_f16_e32 v13, v50, v13
	v_mul_f16_e32 v50, 0xbbf1, v12
	v_mul_f16_e32 v63, 0x3b7b, v12
	v_add_f16_e32 v35, v35, v38
	v_fmamk_f16 v38, v78, 0xbbc4, v58
	v_add_f16_e32 v8, v53, v8
	v_fmamk_f16 v53, v78, 0x2fb7, v50
	v_mul_f16_e32 v67, 0x3770, v12
	v_fmamk_f16 v59, v78, 0xb5ac, v63
	v_add_f16_e32 v11, v38, v11
	v_sub_f16_e32 v38, v30, v23
	v_add_f16_e32 v9, v53, v9
	v_fmamk_f16 v53, v78, 0x3b15, v67
	v_mul_f16_e32 v76, 0xba95, v12
	v_add_f16_e32 v10, v59, v10
	v_mul_f16_e32 v93, 0xb94e, v12
	v_add_f16_e32 v84, v5, v14
	v_mul_f16_e32 v59, 0x394e, v38
	v_add_f16_e32 v13, v53, v13
	v_fmamk_f16 v60, v78, 0x388b, v76
	v_mul_f16_e32 v53, 0xbb7b, v38
	v_fmamk_f16 v12, v78, 0xb9fd, v93
	v_fmamk_f16 v64, v84, 0xb9fd, v59
	v_mul_f16_e32 v71, 0xbbf1, v38
	v_mul_f16_e32 v68, 0x3770, v38
	v_add_f16_e32 v8, v60, v8
	v_fmamk_f16 v60, v84, 0xb5ac, v53
	v_add_f16_e32 v12, v12, v35
	v_add_f16_e32 v11, v64, v11
	v_sub_f16_e32 v35, v29, v24
	v_fmamk_f16 v64, v84, 0x2fb7, v71
	v_mul_f16_e32 v100, 0x3a95, v38
	v_fmamk_f16 v65, v84, 0x3b15, v68
	v_add_f16_e32 v9, v60, v9
	v_mul_f16_e32 v87, 0x33a8, v38
	v_add_f16_e32 v89, v4, v15
	v_mul_f16_e32 v60, 0xb94e, v35
	v_add_f16_e32 v13, v64, v13
	v_fmamk_f16 v64, v84, 0x388b, v100
	v_mul_f16_e32 v72, 0xba95, v35
	v_add_f16_e32 v10, v65, v10
	v_fmamk_f16 v38, v84, 0xbbc4, v87
	v_mul_f16_e32 v65, 0x3bf1, v35
	v_fmamk_f16 v69, v89, 0xb9fd, v60
	v_add_f16_e32 v12, v64, v12
	v_fmamk_f16 v64, v89, 0x388b, v72
	v_mul_f16_e32 v80, 0x33a8, v35
	v_sub_f16_e32 v77, v28, v26
	v_mul_f16_e32 v55, 0xbb7b, v37
	v_add_f16_e32 v8, v38, v8
	v_fmamk_f16 v38, v89, 0x2fb7, v65
	v_add_f16_e32 v9, v69, v9
	v_mul_f16_e32 v92, 0x3770, v35
	v_add_f16_e32 v86, v64, v10
	v_fmamk_f16 v10, v89, 0xbbc4, v80
	v_add_f16_e32 v96, v7, v6
	v_mul_f16_e32 v64, 0xb3a8, v77
	v_mul_f16_e32 v69, 0x3770, v77
	;; [unrolled: 1-line block ×3, first 2 shown]
	v_fma_f16 v46, v73, 0xb5ac, -v55
	v_add_f16_e32 v38, v38, v11
	v_fmamk_f16 v11, v89, 0x3b15, v92
	v_add_f16_e32 v90, v10, v13
	v_mul_f16_e32 v104, 0xbb7b, v35
	v_fmamk_f16 v10, v96, 0xbbc4, v64
	v_fmamk_f16 v13, v96, 0x3b15, v69
	v_mul_f16_e32 v82, 0xb94e, v77
	v_mul_f16_e32 v88, 0x3a95, v77
	v_add_f16_e32 v8, v11, v8
	v_fmamk_f16 v35, v89, 0xb5ac, v104
	v_add_f16_e32 v11, v10, v9
	v_add_f16_e32 v10, v13, v38
	v_fmamk_f16 v9, v96, 0xb9fd, v82
	v_fmamk_f16 v38, v96, 0x388b, v88
	v_mul_f16_e32 v98, 0xbb7b, v77
	v_mul_f16_e32 v107, 0x3bf1, v77
	v_add_f16_e32 v36, v46, v36
	v_fma_f16 v46, v81, 0xb5ac, -v61
	v_mul_f16_e32 v103, 0x394e, v37
	v_mul_f16_e32 v54, 0xbbf1, v25
	v_add_f16_e32 v35, v35, v12
	v_add_f16_e32 v13, v9, v86
	v_add_f16_e32 v12, v38, v90
	v_fmamk_f16 v9, v96, 0xb5ac, v98
	v_fmamk_f16 v38, v96, 0x2fb7, v107
	v_mul_f16_e32 v108, 0xb94e, v25
	v_add_f16_e32 v46, v46, v40
	v_mul_f16_e32 v120, 0xb3a8, v25
	v_fma_f16 v25, v73, 0xb9fd, -v103
	v_fma_f16 v33, v81, 0x2fb7, -v54
	v_mul_f16_e32 v97, 0xb3a8, v37
	v_add_f16_e32 v9, v9, v8
	v_add_f16_e32 v8, v38, v35
	v_fma_f16 v38, v81, 0xb9fd, -v108
	v_mul_f16_e32 v109, 0x3bf1, v37
	v_add_f16_e32 v25, v25, v46
	v_sub_f16_e32 v46, v18, v2
	v_add_f16_e32 v33, v33, v40
	v_fma_f16 v35, v73, 0xbbc4, -v97
	v_add_f16_e32 v38, v38, v40
	v_fma_f16 v77, v73, 0x2fb7, -v109
	v_add_f16_e32 v113, v21, v31
	v_mul_f16_e32 v101, 0x3b7b, v46
	v_add_f16_e32 v33, v35, v33
	v_fma_f16 v35, v81, 0xbbc4, -v120
	v_add_f16_e32 v38, v77, v38
	v_mul_f16_e32 v121, 0x3770, v37
	v_mul_f16_e32 v77, 0xbbf1, v46
	v_fma_f16 v91, v113, 0xb5ac, -v101
	v_add_f16_e32 v35, v35, v40
	v_mul_f16_e32 v94, 0xb3a8, v46
	v_fma_f16 v37, v73, 0x3b15, -v121
	v_mul_f16_e32 v105, 0x3770, v46
	v_fma_f16 v86, v113, 0x2fb7, -v77
	v_add_f16_e32 v33, v91, v33
	v_sub_f16_e32 v91, v14, v5
	v_mul_f16_e32 v123, 0xb94e, v46
	v_fma_f16 v90, v113, 0xbbc4, -v94
	v_add_f16_e32 v35, v37, v35
	v_fma_f16 v37, v113, 0x3b15, -v105
	v_add_f16_e32 v86, v86, v83
	v_mul_f16_e32 v117, 0xba95, v46
	v_add_f16_e32 v114, v23, v30
	v_mul_f16_e32 v83, 0xbb7b, v91
	v_fma_f16 v46, v113, 0xb9fd, -v123
	v_add_f16_e32 v36, v90, v36
	v_add_f16_e32 v25, v37, v25
	v_mul_f16_e32 v90, 0x394e, v91
	v_mul_f16_e32 v102, 0x3770, v91
	v_fma_f16 v37, v113, 0x388b, -v117
	v_fma_f16 v95, v114, 0xb5ac, -v83
	v_add_f16_e32 v35, v46, v35
	v_sub_f16_e32 v46, v15, v4
	v_fma_f16 v99, v114, 0xb9fd, -v90
	v_fma_f16 v106, v114, 0x3b15, -v102
	v_add_f16_e32 v37, v37, v38
	v_add_f16_e32 v38, v95, v86
	v_mul_f16_e32 v110, 0xbbf1, v91
	v_mul_f16_e32 v125, 0x3a95, v91
	v_add_f16_e32 v115, v24, v29
	v_mul_f16_e32 v95, 0x3bf1, v46
	v_add_f16_e32 v36, v99, v36
	v_add_f16_e32 v33, v106, v33
	v_mul_f16_e32 v119, 0x33a8, v91
	v_mul_f16_e32 v86, 0xb94e, v46
	v_fma_f16 v91, v114, 0x2fb7, -v110
	v_fma_f16 v106, v114, 0x388b, -v125
	;; [unrolled: 1-line block ×3, first 2 shown]
	v_sub_f16_e32 v127, v6, v7
	v_fma_f16 v99, v114, 0xbbc4, -v119
	v_fma_f16 v111, v115, 0xb9fd, -v86
	v_add_f16_e32 v25, v91, v25
	v_add_f16_e32 v35, v106, v35
	;; [unrolled: 1-line block ×3, first 2 shown]
	v_mul_f16_e32 v106, 0xba95, v46
	v_mul_f16_e32 v112, 0x33a8, v46
	;; [unrolled: 1-line block ×4, first 2 shown]
	v_add_f16_e32 v118, v26, v28
	v_mul_f16_e32 v91, 0xb3a8, v127
	v_add_f16_e32 v37, v99, v37
	v_add_f16_e32 v38, v111, v38
	v_fma_f16 v46, v115, 0x388b, -v106
	v_fma_f16 v99, v115, 0xbbc4, -v112
	;; [unrolled: 1-line block ×5, first 2 shown]
	s_clause 0x1
	s_load_b64 s[4:5], s[0:1], 0x20
	s_load_b64 s[2:3], s[0:1], 0x8
	v_add_f16_e32 v46, v46, v33
	v_add_f16_e32 v25, v99, v25
	v_add_f16_e64 v128, v111, v37
	v_add_f16_e64 v129, v116, v35
	v_add_f16_e32 v33, v124, v38
	v_mul_f16_e32 v99, 0x3770, v127
	v_mul_f16_e32 v111, 0xb94e, v127
	;; [unrolled: 1-line block ×5, first 2 shown]
	v_fma_f16 v35, v118, 0x3b15, -v99
	v_fma_f16 v37, v118, 0xb9fd, -v111
	;; [unrolled: 1-line block ×5, first 2 shown]
	v_add_f16_e32 v35, v35, v36
	v_add_f16_e32 v36, v37, v46
	v_add_f16_e32 v37, v38, v25
	v_add_f16_e64 v38, v130, v128
	v_add_f16_e64 v25, v131, v129
	v_mul_lo_u16 v46, v42, 13
	global_wb scope:SCOPE_SE
	s_wait_kmcnt 0x0
	s_barrier_signal -1
	s_barrier_wait -1
	global_inv scope:SCOPE_SE
	s_and_saveexec_b32 s0, vcc_lo
	s_cbranch_execz .LBB0_7
; %bb.6:
	v_mul_f16_e64 v135, 0xbbc4, v81
	v_mul_f16_e64 v128, 0x3b15, v79
	;; [unrolled: 1-line block ×5, first 2 shown]
	v_add_f16_e64 v120, v120, v135
	v_mul_f16_e64 v135, 0x3b15, v73
	v_mul_f16_e64 v137, 0xb9fd, v79
	v_mul_f16_e32 v79, 0xbbc4, v79
	v_mul_f16_e64 v141, 0xb9fd, v113
	v_add_f16_e32 v120, v120, v40
	v_add_f16_e64 v121, v121, v135
	v_mul_f16_e64 v129, 0x3b15, v81
	v_sub_f16_e32 v74, v79, v74
	v_add_f16_e64 v123, v123, v141
	v_mul_f16_e64 v131, 0x388b, v81
	v_add_f16_e32 v120, v121, v120
	v_mul_f16_e32 v121, 0x3b15, v75
	v_add_f16_e32 v74, v74, v0
	v_mul_f16_e64 v133, 0x2fb7, v81
	v_mul_f16_e64 v136, 0xb5ac, v81
	v_add_f16_e32 v120, v123, v120
	v_sub_f16_e32 v85, v121, v85
	v_mul_f16_e32 v121, 0x388b, v114
	v_mul_f16_e32 v123, 0xb9fd, v78
	;; [unrolled: 1-line block ×3, first 2 shown]
	v_mul_f16_e64 v139, 0x388b, v73
	v_add_f16_e32 v74, v85, v74
	v_add_f16_e32 v121, v125, v121
	v_sub_f16_e32 v93, v123, v93
	v_mul_f16_e64 v135, 0xb5ac, v73
	v_mul_f16_e64 v143, 0xbbc4, v73
	v_mul_f16_e32 v79, 0xb9fd, v73
	v_add_f16_e32 v120, v121, v120
	v_mul_f16_e32 v121, 0x388b, v84
	v_mul_f16_e32 v73, 0x2fb7, v73
	v_add_f16_e32 v74, v93, v74
	v_add_f16_e32 v81, v108, v81
	v_mul_f16_e32 v123, 0x2fb7, v113
	v_sub_f16_e32 v100, v121, v100
	v_mul_f16_e32 v121, 0xbbc4, v113
	v_mul_f16_e32 v108, 0x3b15, v113
	v_add_f16_e32 v73, v109, v73
	v_add_f16_e32 v81, v81, v40
	;; [unrolled: 1-line block ×3, first 2 shown]
	v_mul_f16_e32 v100, 0xb5ac, v113
	v_mul_f16_e32 v113, 0x388b, v113
	v_mul_f16_e64 v140, 0xb5ac, v75
	v_mul_f16_e32 v85, 0xb5ac, v115
	v_add_f16_e32 v73, v73, v81
	v_sub_f16_e64 v48, v130, v48
	v_add_f16_e32 v113, v117, v113
	v_sub_f16_e64 v52, v140, v52
	v_add_f16_e32 v85, v126, v85
	v_mul_f16_e32 v126, 0xbbc4, v78
	v_add_f16_e32 v48, v48, v0
	v_add_f16_e32 v73, v113, v73
	v_mul_f16_e32 v113, 0xbbc4, v114
	v_add_f16_e32 v34, v34, v40
	;; [unrolled: 3-line block ×3, first 2 shown]
	v_add_f16_e32 v113, v119, v113
	v_mul_f16_e32 v119, 0x3b15, v115
	v_sub_f16_e32 v52, v126, v58
	v_add_f16_e32 v32, v32, v34
	v_add_f16_e32 v1, v17, v1
	v_mul_f16_e64 v138, 0x388b, v75
	v_mul_f16_e64 v142, 0xbbc4, v75
	;; [unrolled: 1-line block ×3, first 2 shown]
	v_mul_f16_e32 v75, 0x2fb7, v75
	v_mul_f16_e32 v93, 0x2fb7, v118
	v_add_f16_e32 v85, v85, v120
	v_mul_f16_e32 v120, 0xb5ac, v89
	v_sub_f16_e64 v66, v137, v66
	v_add_f16_e32 v119, v122, v119
	v_mul_f16_e32 v122, 0x2fb7, v89
	v_add_f16_e32 v48, v52, v48
	v_sub_f16_e32 v17, v81, v59
	v_add_f16_e32 v31, v31, v32
	v_add_f16_e32 v1, v18, v1
	v_mul_f16_e32 v125, 0x2fb7, v78
	v_add_f16_e32 v93, v127, v93
	v_mul_f16_e32 v127, 0xb5ac, v78
	v_sub_f16_e32 v104, v120, v104
	v_mul_f16_e32 v120, 0x3b15, v78
	v_mul_f16_e32 v78, 0x388b, v78
	v_sub_f16_e32 v70, v75, v70
	v_add_f16_e32 v66, v66, v0
	v_add_f16_e32 v79, v103, v79
	v_mul_f16_e32 v103, 0x3b15, v96
	v_add_f16_e32 v17, v17, v48
	v_sub_f16_e32 v18, v122, v65
	v_add_f16_e32 v30, v30, v31
	v_add_f16_e32 v1, v14, v1
	v_add_f16_e32 v74, v104, v74
	v_mul_f16_e32 v104, 0xb5ac, v84
	v_add_f16_e32 v85, v93, v85
	v_mul_f16_e32 v93, 0x3b15, v84
	v_mul_f16_e64 v137, 0x2fb7, v84
	v_mul_f16_e32 v84, 0xbbc4, v84
	v_add_f16_e32 v73, v113, v73
	v_add_f16_e32 v66, v70, v66
	v_sub_f16_e32 v76, v78, v76
	v_add_f16_e64 v61, v61, v136
	v_add_f16_e32 v17, v18, v17
	v_sub_f16_e32 v18, v103, v69
	v_add_f16_e32 v29, v29, v30
	v_add_f16_e32 v1, v15, v1
	v_mul_f16_e32 v75, 0xb9fd, v89
	v_add_f16_e32 v73, v119, v73
	v_mul_f16_e32 v119, 0x388b, v89
	;; [unrolled: 2-line block ×3, first 2 shown]
	v_mul_f16_e32 v89, 0x3b15, v89
	v_sub_f16_e32 v84, v84, v87
	v_add_f16_e32 v61, v61, v40
	v_add_f16_e64 v15, v44, v129
	v_add_f16_e32 v17, v18, v17
	v_add_f16_e32 v18, v28, v29
	;; [unrolled: 1-line block ×4, first 2 shown]
	v_sub_f16_e32 v89, v89, v92
	v_add_f16_e32 v61, v79, v61
	v_mul_f16_e32 v79, 0xb5ac, v96
	v_sub_f16_e64 v56, v134, v56
	v_sub_f16_e64 v51, v132, v51
	v_sub_f16_e64 v6, v128, v39
	v_add_f16_e32 v15, v15, v40
	v_add_f16_e64 v28, v47, v139
	v_add_f16_e32 v18, v26, v18
	v_add_f16_e32 v1, v7, v1
	v_add_f16_e64 v49, v49, v131
	v_mul_f16_e32 v109, 0x2fb7, v96
	v_add_f16_e32 v66, v89, v66
	v_sub_f16_e32 v79, v79, v98
	v_add_f16_e64 v54, v54, v133
	v_add_f16_e32 v56, v56, v0
	v_add_f16_e32 v51, v51, v0
	v_add_f16_e32 v0, v6, v0
	v_sub_f16_e64 v6, v138, v45
	v_add_f16_e32 v7, v28, v15
	v_add_f16_e32 v15, v24, v18
	;; [unrolled: 1-line block ×4, first 2 shown]
	v_add_f16_e64 v55, v55, v135
	v_sub_f16_e32 v107, v109, v107
	v_add_f16_e32 v66, v79, v66
	v_sub_f16_e64 v62, v141, v62
	v_add_f16_e32 v54, v54, v40
	v_add_f16_e64 v79, v97, v143
	v_sub_f16_e64 v57, v142, v57
	v_mul_f16_e32 v109, 0xb5ac, v114
	v_add_f16_e32 v4, v77, v123
	v_add_f16_e32 v0, v6, v0
	v_sub_f16_e32 v6, v125, v50
	v_add_f16_e32 v15, v23, v15
	v_add_f16_e32 v1, v5, v1
	v_mul_f16_e32 v117, 0xb9fd, v114
	v_add_f16_e32 v49, v55, v49
	v_add_f16_e32 v55, v94, v121
	;; [unrolled: 1-line block ×3, first 2 shown]
	v_mul_f16_e32 v107, 0x3b15, v114
	v_mul_f16_e32 v114, 0x2fb7, v114
	;; [unrolled: 1-line block ×3, first 2 shown]
	v_add_f16_e32 v105, v105, v108
	v_add_f16_e32 v56, v62, v56
	v_sub_f16_e32 v62, v120, v67
	v_add_f16_e32 v54, v79, v54
	v_add_f16_e32 v67, v101, v100
	;; [unrolled: 1-line block ×3, first 2 shown]
	v_sub_f16_e32 v57, v127, v63
	v_mul_f16_e32 v113, 0xb9fd, v115
	v_add_f16_e32 v4, v4, v7
	v_add_f16_e32 v5, v83, v109
	;; [unrolled: 1-line block ×5, first 2 shown]
	v_mul_f16_e32 v78, 0x2fb7, v115
	v_add_f16_e32 v49, v55, v49
	v_add_f16_e32 v55, v90, v117
	v_sub_f16_e32 v2, v104, v53
	v_add_f16_e32 v70, v124, v70
	v_mul_f16_e32 v124, 0x388b, v115
	v_mul_f16_e32 v115, 0xbbc4, v115
	v_add_f16_e32 v61, v105, v61
	v_add_f16_e32 v89, v110, v114
	;; [unrolled: 1-line block ×3, first 2 shown]
	v_sub_f16_e64 v62, v137, v71
	v_add_f16_e32 v54, v67, v54
	v_add_f16_e32 v67, v102, v107
	;; [unrolled: 1-line block ×3, first 2 shown]
	v_sub_f16_e32 v57, v93, v68
	v_add_f16_e32 v4, v5, v4
	v_add_f16_e32 v5, v86, v113
	;; [unrolled: 1-line block ×4, first 2 shown]
	v_mul_f16_e64 v136, 0xbbc4, v96
	v_mul_f16_e32 v87, 0xbbc4, v118
	v_mul_f16_e32 v84, 0x3b15, v118
	v_add_f16_e32 v34, v55, v49
	v_add_f16_e32 v49, v95, v78
	;; [unrolled: 1-line block ×3, first 2 shown]
	v_sub_f16_e32 v2, v75, v60
	v_mul_f16_e32 v92, 0xb9fd, v96
	v_mul_f16_e32 v108, 0xb9fd, v118
	v_mul_f16_e32 v96, 0x388b, v96
	v_mul_f16_e32 v118, 0x388b, v118
	v_add_f16_e32 v70, v70, v73
	v_add_f16_e32 v61, v89, v61
	;; [unrolled: 1-line block ×4, first 2 shown]
	v_sub_f16_e32 v62, v76, v80
	v_add_f16_e32 v54, v67, v54
	v_add_f16_e32 v67, v106, v124
	;; [unrolled: 1-line block ×3, first 2 shown]
	v_sub_f16_e32 v57, v119, v72
	v_add_f16_e32 v3, v5, v4
	v_add_f16_e32 v4, v20, v6
	;; [unrolled: 1-line block ×7, first 2 shown]
	v_sub_f16_e64 v2, v136, v64
	v_add_f16_e32 v61, v73, v61
	v_add_f16_e32 v73, v116, v118
	;; [unrolled: 1-line block ×3, first 2 shown]
	v_sub_f16_e32 v62, v96, v88
	v_add_f16_e32 v54, v67, v54
	v_add_f16_e32 v63, v111, v108
	;; [unrolled: 1-line block ×3, first 2 shown]
	v_sub_f16_e32 v57, v92, v82
	v_lshlrev_b32_e32 v4, 16, v4
	v_and_b32_e32 v1, 0xffff, v1
	v_and_b32_e32 v6, 0xffff, v46
	v_add_f16_e32 v14, v14, v32
	v_add_f16_e32 v3, v5, v3
	;; [unrolled: 1-line block ×7, first 2 shown]
	v_or_b32_e32 v1, v4, v1
	v_add_lshl_u32 v4, v27, v6, 2
	v_pack_b32_f16 v5, v17, v14
	v_pack_b32_f16 v0, v0, v3
	;; [unrolled: 1-line block ×6, first 2 shown]
	v_perm_b32 v14, v38, v9, 0x5040100
	v_perm_b32 v15, v25, v8, 0x5040100
	;; [unrolled: 1-line block ×6, first 2 shown]
	ds_store_b32 v4, v1
	ds_store_2addr_b32 v4, v0, v5 offset0:1 offset1:2
	ds_store_2addr_b32 v4, v2, v3 offset0:3 offset1:4
	;; [unrolled: 1-line block ×6, first 2 shown]
.LBB0_7:
	s_wait_alu 0xfffe
	s_or_b32 exec_lo, exec_lo, s0
	v_add_lshl_u32 v45, v27, v42, 2
	global_wb scope:SCOPE_SE
	s_wait_dscnt 0x0
	s_barrier_signal -1
	s_barrier_wait -1
	global_inv scope:SCOPE_SE
	v_add_nc_u32_e32 v0, 0x400, v45
	v_add_nc_u32_e32 v1, 0x800, v45
	v_cmp_gt_u16_e64 s0, 52, v42
                                        ; implicit-def: $vgpr28
                                        ; implicit-def: $vgpr29
	ds_load_2addr_b32 v[14:15], v45 offset1:143
	ds_load_2addr_b32 v[23:24], v0 offset0:30 offset1:173
	ds_load_2addr_b32 v[21:22], v1 offset0:60 offset1:203
	ds_load_b32 v26, v45 offset:3432
	s_and_saveexec_b32 s1, s0
	s_cbranch_execz .LBB0_9
; %bb.8:
	v_add_nc_u32_e32 v0, 0x500, v45
	v_add_nc_u32_e32 v1, 0xa00, v45
	ds_load_2addr_b32 v[8:9], v45 offset0:91 offset1:234
	ds_load_2addr_b32 v[12:13], v0 offset0:57 offset1:200
	;; [unrolled: 1-line block ×3, first 2 shown]
	ds_load_b32 v28, v45 offset:3796
	s_wait_dscnt 0x3
	v_lshrrev_b32_e32 v25, 16, v8
	v_lshrrev_b32_e32 v38, 16, v9
	s_wait_dscnt 0x2
	v_lshrrev_b32_e32 v37, 16, v12
	v_lshrrev_b32_e32 v36, 16, v13
	;; [unrolled: 3-line block ×3, first 2 shown]
	s_wait_dscnt 0x0
	v_lshrrev_b32_e32 v29, 16, v28
.LBB0_9:
	s_wait_alu 0xfffe
	s_or_b32 exec_lo, exec_lo, s1
	v_and_b32_e32 v0, 0xff, v42
	s_wait_dscnt 0x3
	v_lshrrev_b32_e32 v34, 16, v15
	s_wait_dscnt 0x2
	v_lshrrev_b32_e32 v39, 16, v23
	v_lshrrev_b32_e32 v40, 16, v24
	s_wait_dscnt 0x1
	v_lshrrev_b32_e32 v44, 16, v21
	v_mul_lo_u16 v0, 0x4f, v0
	s_wait_dscnt 0x0
	v_lshrrev_b32_e32 v62, 16, v26
	v_lshrrev_b32_e32 v63, 16, v14
	s_delay_alu instid0(VALU_DEP_3) | instskip(SKIP_1) | instid1(VALU_DEP_2)
	v_lshrrev_b16 v30, 10, v0
	v_add_nc_u16 v0, v42, 0x5b
	v_mul_lo_u16 v1, v30, 13
	s_delay_alu instid0(VALU_DEP_2) | instskip(SKIP_1) | instid1(VALU_DEP_3)
	v_and_b32_e32 v2, 0xff, v0
	v_and_b32_e32 v30, 0xffff, v30
	v_sub_nc_u16 v1, v42, v1
	s_delay_alu instid0(VALU_DEP_3) | instskip(NEXT) | instid1(VALU_DEP_3)
	v_mul_lo_u16 v2, 0x4f, v2
	v_mul_u32_u24_e32 v30, 0x5b, v30
	s_delay_alu instid0(VALU_DEP_3) | instskip(NEXT) | instid1(VALU_DEP_3)
	v_and_b32_e32 v31, 0xff, v1
	v_lshrrev_b16 v32, 10, v2
	s_delay_alu instid0(VALU_DEP_2) | instskip(NEXT) | instid1(VALU_DEP_2)
	v_mul_u32_u24_e32 v1, 6, v31
	v_mul_lo_u16 v2, v32, 13
	v_add_nc_u32_e32 v30, v30, v31
	v_lshrrev_b32_e32 v31, 16, v22
	v_and_b32_e32 v48, 0xffff, v32
	v_lshlrev_b32_e32 v1, 2, v1
	v_sub_nc_u16 v0, v0, v2
	v_add_lshl_u32 v55, v27, v30, 2
	s_clause 0x1
	global_load_b128 v[4:7], v1, s[2:3]
	global_load_b64 v[19:20], v1, s[2:3] offset:16
	v_and_b32_e32 v47, 0xff, v0
	s_delay_alu instid0(VALU_DEP_1) | instskip(NEXT) | instid1(VALU_DEP_1)
	v_mul_u32_u24_e32 v0, 6, v47
	v_lshlrev_b32_e32 v17, 2, v0
	s_clause 0x1
	global_load_b128 v[0:3], v17, s[2:3]
	global_load_b64 v[17:18], v17, s[2:3] offset:16
	s_load_b128 s[4:7], s[4:5], 0x0
	global_wb scope:SCOPE_SE
	s_wait_loadcnt 0x0
	s_wait_kmcnt 0x0
	s_barrier_signal -1
	s_barrier_wait -1
	global_inv scope:SCOPE_SE
	v_lshrrev_b32_e32 v61, 16, v4
	v_lshrrev_b32_e32 v60, 16, v5
	;; [unrolled: 1-line block ×6, first 2 shown]
	v_mul_f16_e32 v30, v34, v61
	v_mul_f16_e32 v32, v15, v61
	;; [unrolled: 1-line block ×12, first 2 shown]
	v_lshrrev_b32_e32 v53, 16, v0
	v_lshrrev_b32_e32 v51, 16, v1
	;; [unrolled: 1-line block ×6, first 2 shown]
	v_fma_f16 v15, v15, v4, -v30
	v_fmac_f16_e32 v32, v34, v4
	v_fma_f16 v23, v23, v5, -v64
	v_fmac_f16_e32 v65, v39, v5
	v_fma_f16 v24, v24, v6, -v66
	v_fmac_f16_e32 v67, v40, v6
	v_fma_f16 v21, v21, v7, -v68
	v_fmac_f16_e32 v69, v44, v7
	v_fma_f16 v22, v22, v19, -v70
	v_fmac_f16_e32 v71, v31, v19
	v_fma_f16 v26, v26, v20, -v72
	v_fmac_f16_e32 v73, v62, v20
	v_mul_f16_e32 v30, v38, v53
	v_mul_f16_e32 v31, v9, v53
	;; [unrolled: 1-line block ×12, first 2 shown]
	v_fma_f16 v9, v9, v0, -v30
	v_fmac_f16_e32 v31, v38, v0
	v_fma_f16 v12, v12, v1, -v34
	v_fmac_f16_e32 v39, v37, v1
	;; [unrolled: 2-line block ×4, first 2 shown]
	v_add_f16_e32 v29, v15, v26
	v_add_f16_e32 v30, v32, v73
	v_sub_f16_e32 v15, v15, v26
	v_sub_f16_e32 v26, v32, v73
	v_add_f16_e32 v32, v23, v22
	v_add_f16_e32 v33, v65, v71
	v_sub_f16_e32 v22, v23, v22
	v_sub_f16_e32 v23, v65, v71
	v_add_f16_e32 v34, v24, v21
	v_sub_f16_e32 v21, v21, v24
	v_sub_f16_e32 v24, v69, v67
	v_fma_f16 v13, v13, v2, -v40
	v_fmac_f16_e32 v44, v36, v2
	v_fma_f16 v10, v10, v3, -v62
	v_fmac_f16_e32 v64, v35, v3
	v_add_f16_e32 v35, v67, v69
	v_add_f16_e32 v36, v32, v29
	v_add_f16_e32 v37, v33, v30
	v_sub_f16_e32 v38, v32, v29
	v_sub_f16_e32 v29, v29, v34
	;; [unrolled: 1-line block ×3, first 2 shown]
	v_add_f16_e32 v62, v21, v22
	v_sub_f16_e32 v66, v21, v22
	v_sub_f16_e32 v67, v24, v23
	v_add_f16_e32 v69, v9, v28
	v_add_f16_e32 v70, v31, v72
	v_sub_f16_e32 v9, v9, v28
	v_sub_f16_e32 v28, v31, v72
	v_add_f16_e32 v31, v12, v11
	v_add_f16_e32 v71, v39, v68
	v_sub_f16_e32 v40, v33, v30
	v_sub_f16_e32 v30, v30, v35
	;; [unrolled: 1-line block ×3, first 2 shown]
	v_add_f16_e32 v65, v24, v23
	v_sub_f16_e32 v21, v15, v21
	v_sub_f16_e32 v22, v22, v15
	;; [unrolled: 1-line block ×5, first 2 shown]
	v_add_f16_e32 v39, v13, v10
	v_add_f16_e32 v68, v44, v64
	v_sub_f16_e32 v10, v10, v13
	v_sub_f16_e32 v13, v64, v44
	v_add_f16_e32 v34, v34, v36
	v_add_f16_e32 v35, v35, v37
	;; [unrolled: 1-line block ×3, first 2 shown]
	v_mul_f16_e32 v29, 0x3a52, v29
	v_mul_f16_e32 v36, 0x2b26, v32
	;; [unrolled: 1-line block ×4, first 2 shown]
	v_add_f16_e32 v66, v31, v69
	v_add_f16_e32 v67, v71, v70
	v_sub_f16_e32 v24, v26, v24
	v_add_f16_e32 v26, v65, v26
	v_mul_f16_e32 v30, 0x3a52, v30
	v_mul_f16_e32 v37, 0x2b26, v33
	;; [unrolled: 1-line block ×4, first 2 shown]
	v_sub_f16_e32 v72, v31, v69
	v_sub_f16_e32 v73, v71, v70
	;; [unrolled: 1-line block ×6, first 2 shown]
	v_add_f16_e32 v74, v10, v11
	v_sub_f16_e32 v76, v10, v11
	v_sub_f16_e32 v77, v13, v12
	;; [unrolled: 1-line block ×5, first 2 shown]
	v_add_f16_e32 v80, v34, v14
	v_add_f16_e32 v63, v35, v63
	v_fmamk_f16 v32, v32, 0x2b26, v29
	v_fma_f16 v36, v38, 0x39e0, -v36
	v_fma_f16 v29, v38, 0xb9e0, -v29
	v_fmamk_f16 v38, v21, 0x3574, v44
	v_fma_f16 v22, v22, 0x3b00, -v44
	v_add_f16_e32 v39, v39, v66
	v_add_f16_e32 v44, v68, v67
	;; [unrolled: 1-line block ×3, first 2 shown]
	v_sub_f16_e32 v13, v28, v13
	v_fmamk_f16 v33, v33, 0x2b26, v30
	v_fma_f16 v37, v40, 0x39e0, -v37
	v_fma_f16 v30, v40, 0xb9e0, -v30
	v_fmamk_f16 v40, v24, 0x3574, v62
	v_fma_f16 v23, v23, 0x3b00, -v62
	v_fma_f16 v21, v21, 0xb574, -v64
	;; [unrolled: 1-line block ×3, first 2 shown]
	v_add_f16_e32 v62, v74, v9
	v_mul_f16_e32 v11, 0x3a52, v69
	v_mul_f16_e32 v12, 0x3a52, v70
	;; [unrolled: 1-line block ×8, first 2 shown]
	v_lshlrev_b32_e32 v69, 16, v63
	v_and_b32_e32 v70, 0xffff, v80
	v_fmac_f16_e32 v80, 0xbcab, v34
	v_fmac_f16_e32 v63, 0xbcab, v35
	v_add_f16_e32 v8, v8, v39
	v_add_f16_e32 v9, v25, v44
	;; [unrolled: 1-line block ×3, first 2 shown]
	v_fmac_f16_e32 v38, 0x370e, v15
	v_fmac_f16_e32 v40, 0x370e, v26
	;; [unrolled: 1-line block ×6, first 2 shown]
	v_fmamk_f16 v25, v31, 0x2b26, v11
	v_fmamk_f16 v26, v71, 0x2b26, v12
	v_fma_f16 v31, v72, 0x39e0, -v14
	v_fma_f16 v34, v73, 0x39e0, -v64
	;; [unrolled: 1-line block ×4, first 2 shown]
	v_fmamk_f16 v11, v78, 0x3574, v65
	v_fmamk_f16 v12, v13, 0x3574, v66
	v_fma_f16 v14, v10, 0x3b00, -v65
	v_fma_f16 v10, v79, 0x3b00, -v66
	;; [unrolled: 1-line block ×4, first 2 shown]
	v_add_f16_e32 v32, v32, v80
	v_add_f16_e32 v33, v33, v63
	;; [unrolled: 1-line block ×6, first 2 shown]
	v_fmamk_f16 v39, v39, 0xbcab, v8
	v_fmamk_f16 v44, v44, 0xbcab, v9
	v_or_b32_e32 v65, v69, v70
	v_fmac_f16_e32 v11, 0x370e, v62
	v_fmac_f16_e32 v12, 0x370e, v28
	;; [unrolled: 1-line block ×6, first 2 shown]
	v_add_f16_e32 v62, v40, v32
	v_sub_f16_e32 v63, v33, v38
	v_add_f16_e32 v66, v24, v29
	v_sub_f16_e32 v67, v30, v21
	v_sub_f16_e32 v68, v36, v23
	v_add_f16_e32 v69, v22, v37
	v_add_f16_e32 v36, v23, v36
	v_sub_f16_e32 v37, v37, v22
	v_sub_f16_e32 v70, v29, v24
	v_add_f16_e32 v71, v21, v30
	v_add_f16_e32 v22, v25, v39
	;; [unrolled: 1-line block ×7, first 2 shown]
	v_sub_f16_e32 v32, v32, v40
	v_add_f16_e32 v33, v38, v33
	v_add_f16_e32 v25, v10, v21
	v_sub_f16_e32 v74, v28, v14
	v_sub_f16_e32 v26, v23, v13
	v_add_f16_e32 v73, v15, v30
	v_sub_f16_e32 v24, v22, v12
	v_pack_b32_f16 v31, v62, v63
	v_add_f16_e32 v62, v11, v29
	v_pack_b32_f16 v34, v66, v67
	v_pack_b32_f16 v35, v68, v69
	;; [unrolled: 1-line block ×5, first 2 shown]
	ds_store_2addr_b32 v55, v65, v31 offset1:13
	ds_store_2addr_b32 v55, v34, v35 offset0:26 offset1:39
	ds_store_2addr_b32 v55, v36, v37 offset0:52 offset1:65
	ds_store_b32 v55, v32 offset:312
	s_and_saveexec_b32 s1, s0
	s_cbranch_execz .LBB0_11
; %bb.10:
	v_mul_u32_u24_e32 v31, 0x5b, v48
	v_sub_f16_e32 v11, v29, v11
	v_add_f16_e32 v12, v12, v22
	v_add_f16_e32 v14, v14, v28
	v_sub_f16_e32 v15, v30, v15
	v_add_nc_u32_e32 v22, v31, v47
	v_add_f16_e32 v13, v13, v23
	v_sub_f16_e32 v10, v21, v10
	v_perm_b32 v8, v9, v8, 0x5040100
	v_pack_b32_f16 v9, v12, v11
	v_add_lshl_u32 v11, v27, v22, 2
	v_pack_b32_f16 v12, v13, v15
	v_pack_b32_f16 v10, v10, v14
	v_perm_b32 v13, v74, v25, 0x5040100
	v_perm_b32 v14, v73, v26, 0x5040100
	v_perm_b32 v15, v62, v24, 0x5040100
	ds_store_2addr_b32 v11, v8, v9 offset1:13
	ds_store_2addr_b32 v11, v12, v10 offset0:26 offset1:39
	ds_store_2addr_b32 v11, v13, v14 offset0:52 offset1:65
	ds_store_b32 v11, v15 offset:312
.LBB0_11:
	s_wait_alu 0xfffe
	s_or_b32 exec_lo, exec_lo, s1
	v_mad_co_u64_u32 v[21:22], null, v42, 40, s[2:3]
	global_wb scope:SCOPE_SE
	s_wait_dscnt 0x0
	s_barrier_signal -1
	s_barrier_wait -1
	global_inv scope:SCOPE_SE
	v_add_nc_u32_e32 v23, 0x400, v45
	v_add_nc_u32_e32 v32, 0x600, v45
	s_clause 0x2
	global_load_b128 v[12:15], v[21:22], off offset:312
	global_load_b128 v[8:11], v[21:22], off offset:328
	global_load_b64 v[21:22], v[21:22], off offset:344
	ds_load_2addr_b32 v[28:29], v45 offset0:91 offset1:182
	v_add_nc_u32_e32 v34, 0x800, v45
	ds_load_2addr_b32 v[30:31], v23 offset0:17 offset1:108
	v_add_nc_u32_e32 v23, 0xc00, v45
	ds_load_b32 v27, v45
	ds_load_2addr_b32 v[32:33], v32 offset0:71 offset1:162
	ds_load_2addr_b32 v[34:35], v34 offset0:125 offset1:216
	;; [unrolled: 1-line block ×3, first 2 shown]
	v_lshl_add_u32 v44, v42, 2, v43
	s_delay_alu instid0(VALU_DEP_1)
	v_add_nc_u32_e32 v23, 0x400, v44
	v_add_nc_u32_e32 v37, 0x800, v44
	;; [unrolled: 1-line block ×4, first 2 shown]
	s_wait_dscnt 0x5
	v_lshrrev_b32_e32 v36, 16, v28
	v_lshrrev_b32_e32 v75, 16, v29
	s_wait_dscnt 0x4
	v_lshrrev_b32_e32 v77, 16, v30
	v_lshrrev_b32_e32 v78, 16, v31
	s_wait_dscnt 0x3
	v_lshrrev_b32_e32 v76, 16, v27
	s_wait_dscnt 0x2
	;; [unrolled: 2-line block ×3, first 2 shown]
	v_lshrrev_b32_e32 v83, 16, v39
	v_lshrrev_b32_e32 v84, 16, v40
	;; [unrolled: 1-line block ×5, first 2 shown]
	s_wait_loadcnt 0x2
	v_lshrrev_b32_e32 v72, 16, v12
	v_lshrrev_b32_e32 v71, 16, v13
	s_wait_loadcnt 0x0
	v_lshrrev_b32_e32 v64, 16, v21
	v_lshrrev_b32_e32 v63, 16, v22
	v_lshrrev_b32_e32 v70, 16, v14
	v_mul_f16_e32 v85, v36, v72
	v_mul_f16_e32 v87, v28, v72
	v_lshrrev_b32_e32 v69, 16, v15
	v_lshrrev_b32_e32 v68, 16, v8
	;; [unrolled: 1-line block ×5, first 2 shown]
	v_mul_f16_e32 v88, v75, v71
	v_mul_f16_e32 v89, v29, v71
	;; [unrolled: 1-line block ×5, first 2 shown]
	v_fma_f16 v28, v28, v12, -v85
	v_fmac_f16_e32 v87, v36, v12
	v_mul_f16_e32 v90, v77, v70
	v_mul_f16_e32 v91, v30, v70
	;; [unrolled: 1-line block ×13, first 2 shown]
	v_fma_f16 v29, v29, v13, -v88
	v_fmac_f16_e32 v89, v75, v13
	v_fma_f16 v36, v39, v21, -v102
	v_fma_f16 v39, v40, v22, -v104
	v_fmac_f16_e32 v105, v84, v22
	v_add_f16_e32 v40, v28, v27
	v_add_f16_e32 v75, v87, v76
	v_fma_f16 v30, v30, v14, -v90
	v_fmac_f16_e32 v91, v77, v14
	v_fma_f16 v31, v31, v15, -v92
	v_fmac_f16_e32 v93, v78, v15
	;; [unrolled: 2-line block ×6, first 2 shown]
	v_fmac_f16_e32 v103, v83, v21
	v_add_f16_e32 v77, v28, v39
	v_sub_f16_e32 v28, v28, v39
	v_sub_f16_e32 v79, v87, v105
	v_add_f16_e32 v80, v29, v36
	v_sub_f16_e32 v82, v29, v36
	v_add_f16_e32 v29, v40, v29
	v_add_f16_e32 v40, v75, v89
	;; [unrolled: 1-line block ×4, first 2 shown]
	v_sub_f16_e32 v83, v89, v103
	v_add_f16_e32 v84, v30, v35
	v_sub_f16_e32 v87, v30, v35
	v_sub_f16_e32 v88, v91, v101
	;; [unrolled: 1-line block ×6, first 2 shown]
	v_mul_f16_e32 v75, 0xb853, v79
	v_mul_f16_e32 v89, 0xb853, v28
	;; [unrolled: 1-line block ×10, first 2 shown]
	v_add_f16_e32 v29, v29, v30
	v_add_f16_e32 v30, v40, v91
	;; [unrolled: 1-line block ×7, first 2 shown]
	v_mul_f16_e32 v112, 0xbb47, v83
	v_mul_f16_e32 v113, 0xbb47, v82
	;; [unrolled: 1-line block ×20, first 2 shown]
	v_mul_f16_e64 v128, 0xba0c, v96
	v_mul_f16_e64 v129, 0xba0c, v94
	;; [unrolled: 1-line block ×8, first 2 shown]
	v_mul_f16_e32 v96, 0x3b47, v96
	v_mul_f16_e32 v94, 0x3b47, v94
	v_mul_f16_e64 v136, 0xb482, v104
	v_mul_f16_e64 v137, 0xb482, v102
	;; [unrolled: 1-line block ×8, first 2 shown]
	v_mul_f16_e32 v104, 0xbbeb, v104
	v_mul_f16_e32 v102, 0xbbeb, v102
	v_fma_f16 v40, v77, 0x3abb, -v75
	v_fmamk_f16 v91, v78, 0x3abb, v89
	v_fmac_f16_e32 v75, 0x3abb, v77
	v_fma_f16 v89, v78, 0x3abb, -v89
	v_fma_f16 v144, v77, 0x36a6, -v106
	v_fma_f16 v145, 0x36a6, v78, v107
	v_fmac_f16_e32 v106, 0x36a6, v77
	v_fma_f16 v107, v78, 0x36a6, -v107
	v_fma_f16 v146, v77, 0xb08e, -v108
	v_fma_f16 v147, 0xb08e, v78, v109
	;; [unrolled: 4-line block ×4, first 2 shown]
	v_add_f16_e32 v29, v29, v31
	v_add_f16_e32 v30, v30, v93
	v_fmac_f16_e32 v79, 0xbbad, v77
	v_fma_f16 v28, v78, 0xbbad, -v28
	v_fma_f16 v77, v80, 0x36a6, -v112
	v_fmamk_f16 v78, v81, 0x36a6, v113
	v_fmac_f16_e32 v112, 0x36a6, v80
	v_fma_f16 v113, v81, 0x36a6, -v113
	v_fma_f16 v152, v80, 0xb93d, -v114
	v_fma_f16 v153, 0xb93d, v81, v115
	v_fmac_f16_e32 v114, 0xb93d, v80
	v_fma_f16 v115, v81, 0xb93d, -v115
	v_fma_f16 v154, v80, 0xbbad, -v116
	v_fma_f16 v155, 0xbbad, v81, v117
	;; [unrolled: 4-line block ×4, first 2 shown]
	v_fmac_f16_e32 v83, 0x3abb, v80
	v_fma_f16 v80, v81, 0x3abb, -v82
	v_fma_f16 v81, v84, 0xb08e, -v120
	v_fmamk_f16 v82, v85, 0xb08e, v121
	v_fmac_f16_e32 v120, 0xb08e, v84
	v_fma_f16 v121, v85, 0xb08e, -v121
	v_fma_f16 v160, v84, 0xbbad, -v122
	v_fma_f16 v161, 0xbbad, v85, v123
	v_fmac_f16_e32 v122, 0xbbad, v84
	v_fma_f16 v123, v85, 0xbbad, -v123
	v_fma_f16 v162, v84, 0x36a6, -v124
	v_fma_f16 v163, 0x36a6, v85, v125
	;; [unrolled: 4-line block ×5, first 2 shown]
	v_fmac_f16_e64 v128, 0xb93d, v90
	v_fma_f16 v129, v92, 0xb93d, -v129
	v_fma_f16 v168, v90, 0xb08e, -v130
	v_fma_f16 v169, 0xb08e, v92, v131
	v_fmac_f16_e64 v130, 0xb08e, v90
	v_fma_f16 v131, v92, 0xb08e, -v131
	v_fma_f16 v170, v90, 0x3abb, -v132
	v_fma_f16 v171, 0x3abb, v92, v133
	;; [unrolled: 4-line block ×4, first 2 shown]
	v_fmac_f16_e32 v96, 0x36a6, v90
	v_fma_f16 v90, v92, 0x36a6, -v94
	v_fma_f16 v92, v98, 0xbbad, -v136
	v_fma_f16 v94, 0xbbad, v100, v137
	v_fmac_f16_e64 v136, 0xbbad, v98
	v_fma_f16 v137, v100, 0xbbad, -v137
	v_fma_f16 v176, v98, 0x3abb, -v138
	v_fma_f16 v177, 0x3abb, v100, v139
	v_fmac_f16_e64 v138, 0x3abb, v98
	;; [unrolled: 4-line block ×4, first 2 shown]
	v_fma_f16 v143, v100, 0x36a6, -v143
	v_fma_f16 v182, v98, 0xb08e, -v104
	v_fma_f16 v183, 0xb08e, v100, v102
	v_fmac_f16_e32 v104, 0xb08e, v98
	v_fma_f16 v98, v100, 0xb08e, -v102
	v_add_f16_e32 v31, v40, v27
	v_add_f16_e32 v40, v91, v76
	;; [unrolled: 1-line block ×4, first 2 shown]
	v_add_f16_e64 v91, v144, v27
	v_add_f16_e64 v93, v145, v76
	v_add_f16_e32 v100, v106, v27
	v_add_f16_e32 v102, v107, v76
	v_add_f16_e64 v106, v146, v27
	v_add_f16_e64 v107, v147, v76
	v_add_f16_e32 v108, v108, v27
	v_add_f16_e32 v109, v109, v76
	v_add_f16_e64 v145, v149, v76
	v_add_f16_e32 v110, v110, v27
	v_add_f16_e32 v111, v111, v76
	v_add_f16_e64 v146, v150, v27
	v_add_f16_e64 v147, v151, v76
	v_add_f16_e32 v29, v29, v32
	v_add_f16_e32 v30, v30, v95
	v_add_f16_e64 v144, v148, v27
	v_add_f16_e32 v27, v79, v27
	v_add_f16_e32 v28, v28, v76
	;; [unrolled: 1-line block ×6, first 2 shown]
	v_add_f16_e64 v76, v152, v91
	v_add_f16_e64 v77, v153, v93
	v_add_f16_e32 v78, v114, v100
	v_add_f16_e32 v79, v115, v102
	v_add_f16_e64 v89, v154, v106
	v_add_f16_e64 v91, v155, v107
	v_add_f16_e32 v93, v116, v108
	v_add_f16_e32 v95, v117, v109
	v_add_f16_e64 v102, v157, v145
	v_add_f16_e32 v106, v118, v110
	v_add_f16_e32 v107, v119, v111
	v_add_f16_e64 v108, v158, v146
	v_add_f16_e64 v109, v159, v147
	v_add_f16_e32 v29, v29, v33
	v_add_f16_e32 v30, v30, v97
	;; [unrolled: 1-line block ×8, first 2 shown]
	v_add_f16_e64 v75, v160, v76
	v_add_f16_e64 v76, v161, v77
	v_add_f16_e32 v77, v122, v78
	v_add_f16_e32 v78, v123, v79
	v_add_f16_e64 v79, v162, v89
	v_add_f16_e64 v80, v163, v91
	v_add_f16_e32 v81, v124, v93
	v_add_f16_e32 v82, v125, v95
	v_add_f16_e64 v89, v165, v102
	v_add_f16_e32 v91, v126, v106
	v_add_f16_e32 v93, v127, v107
	v_add_f16_e64 v95, v166, v108
	v_add_f16_e64 v97, v167, v109
	v_add_f16_e32 v29, v29, v34
	v_add_f16_e32 v30, v30, v99
	;; [unrolled: 1-line block ×4, first 2 shown]
	v_add_f16_e64 v34, v129, v40
	v_add_f16_e64 v40, v168, v75
	;; [unrolled: 1-line block ×8, first 2 shown]
	v_add_f16_e32 v35, v29, v35
	v_add_f16_e32 v97, v30, v101
	v_add_f16_e64 v100, v156, v144
	v_add_f16_e32 v29, v92, v31
	v_add_f16_e64 v30, v176, v40
	v_add_f16_e64 v31, v178, v79
	v_add_f16_e32 v40, v97, v103
	v_add_f16_e32 v79, v35, v36
	v_add_f16_e64 v83, v164, v100
	v_add_f16_e32 v28, v84, v28
	v_add_f16_e32 v32, v87, v32
	;; [unrolled: 1-line block ×4, first 2 shown]
	v_add_f16_e64 v76, v169, v76
	v_add_f16_e64 v80, v171, v80
	;; [unrolled: 1-line block ×4, first 2 shown]
	v_add_f16_e32 v96, v96, v27
	v_add_f16_e32 v90, v90, v28
	v_add_f16_e64 v33, v128, v33
	v_add_f16_e64 v77, v130, v77
	;; [unrolled: 1-line block ×4, first 2 shown]
	v_lshlrev_b32_e32 v40, 16, v40
	v_and_b32_e32 v39, 0xffff, v39
	v_add_f16_e32 v85, v94, v32
	v_add_f16_e64 v82, v177, v76
	v_add_f16_e64 v81, v179, v80
	;; [unrolled: 1-line block ×8, first 2 shown]
	v_add_f16_e32 v36, v104, v96
	v_add_f16_e32 v83, v98, v90
	v_add_f16_e64 v28, v136, v33
	v_add_f16_e64 v27, v138, v77
	;; [unrolled: 1-line block ×6, first 2 shown]
	v_or_b32_e32 v79, v40, v39
	v_pack_b32_f16 v87, v29, v85
	v_pack_b32_f16 v88, v30, v82
	;; [unrolled: 1-line block ×10, first 2 shown]
	ds_store_b32 v44, v79
	ds_store_2addr_b32 v44, v87, v88 offset0:91 offset1:182
	ds_store_2addr_b32 v23, v89, v90 offset0:17 offset1:108
	;; [unrolled: 1-line block ×5, first 2 shown]
	global_wb scope:SCOPE_SE
	s_wait_dscnt 0x0
	s_barrier_signal -1
	s_barrier_wait -1
	global_inv scope:SCOPE_SE
	s_and_saveexec_b32 s1, vcc_lo
	s_cbranch_execz .LBB0_13
; %bb.12:
	global_load_b32 v39, v41, s[20:21] offset:4004
	s_add_nc_u64 s[2:3], s[20:21], 0xfa4
	s_clause 0xb
	global_load_b32 v96, v41, s[2:3] offset:308
	global_load_b32 v97, v41, s[2:3] offset:616
	;; [unrolled: 1-line block ×12, first 2 shown]
	ds_load_b32 v40, v44
	v_add_nc_u32_e32 v108, 0x200, v44
	v_add_nc_u32_e32 v109, 0xa00, v44
	s_wait_dscnt 0x0
	v_lshrrev_b32_e32 v86, 16, v40
	s_wait_loadcnt 0xb
	v_lshrrev_b32_e32 v110, 16, v96
	s_wait_loadcnt 0xa
	;; [unrolled: 2-line block ×8, first 2 shown]
	v_lshrrev_b32_e32 v117, 16, v103
	v_lshrrev_b32_e32 v87, 16, v39
	s_wait_loadcnt 0x3
	v_lshrrev_b32_e32 v118, 16, v104
	s_wait_loadcnt 0x2
	;; [unrolled: 2-line block ×4, first 2 shown]
	v_lshrrev_b32_e32 v121, 16, v107
	v_mul_f16_e32 v88, v86, v87
	v_mul_f16_e32 v87, v40, v87
	s_delay_alu instid0(VALU_DEP_2) | instskip(NEXT) | instid1(VALU_DEP_2)
	v_fma_f16 v40, v40, v39, -v88
	v_fmac_f16_e32 v87, v86, v39
	s_delay_alu instid0(VALU_DEP_1)
	v_pack_b32_f16 v39, v40, v87
	ds_store_b32 v44, v39
	ds_load_2addr_b32 v[39:40], v44 offset0:77 offset1:154
	ds_load_2addr_b32 v[86:87], v108 offset0:103 offset1:180
	ds_load_2addr_b32 v[88:89], v23 offset0:129 offset1:206
	ds_load_2addr_b32 v[90:91], v37 offset0:27 offset1:104
	ds_load_2addr_b32 v[92:93], v109 offset0:53 offset1:130
	ds_load_2addr_b32 v[94:95], v38 offset0:79 offset1:156
	s_wait_dscnt 0x5
	v_lshrrev_b32_e32 v122, 16, v39
	v_lshrrev_b32_e32 v124, 16, v40
	s_wait_dscnt 0x4
	v_lshrrev_b32_e32 v126, 16, v86
	v_lshrrev_b32_e32 v128, 16, v87
	;; [unrolled: 3-line block ×5, first 2 shown]
	v_mul_f16_e32 v123, v39, v110
	v_mul_f16_e32 v125, v40, v111
	s_wait_dscnt 0x0
	v_lshrrev_b32_e32 v142, 16, v94
	v_lshrrev_b32_e32 v144, 16, v95
	v_mul_f16_e32 v110, v122, v110
	v_mul_f16_e32 v111, v124, v111
	;; [unrolled: 1-line block ×3, first 2 shown]
	v_mul_f16_e64 v129, v87, v113
	v_mul_f16_e32 v112, v126, v112
	v_mul_f16_e64 v113, v128, v113
	v_mul_f16_e64 v131, v88, v114
	;; [unrolled: 1-line block ×15, first 2 shown]
	v_fmac_f16_e32 v123, v122, v96
	v_fmac_f16_e32 v125, v124, v97
	v_mul_f16_e64 v120, v142, v120
	v_mul_f16_e64 v121, v144, v121
	v_fma_f16 v39, v39, v96, -v110
	v_fma_f16 v40, v40, v97, -v111
	v_fmac_f16_e32 v127, v126, v98
	v_fmac_f16_e64 v129, v128, v99
	v_fma_f16 v86, v86, v98, -v112
	v_fma_f16 v87, v87, v99, -v113
	v_fmac_f16_e64 v131, v130, v100
	v_fmac_f16_e64 v133, v132, v101
	v_fma_f16 v88, v88, v100, -v114
	v_fma_f16 v89, v89, v101, -v115
	v_fmac_f16_e64 v135, v134, v102
	v_fmac_f16_e64 v137, v136, v103
	v_fma_f16 v90, v90, v102, -v116
	v_fma_f16 v91, v91, v103, -v117
	v_fmac_f16_e64 v139, v138, v104
	v_fmac_f16_e64 v141, v140, v105
	v_fma_f16 v92, v92, v104, -v118
	v_fma_f16 v93, v93, v105, -v119
	v_fmac_f16_e64 v143, v142, v106
	v_fmac_f16_e64 v145, v144, v107
	v_fma_f16 v94, v94, v106, -v120
	v_fma_f16 v95, v95, v107, -v121
	v_pack_b32_f16 v39, v39, v123
	v_pack_b32_f16 v40, v40, v125
	;; [unrolled: 1-line block ×12, first 2 shown]
	ds_store_2addr_b32 v44, v39, v40 offset0:77 offset1:154
	ds_store_2addr_b32 v108, v86, v87 offset0:103 offset1:180
	;; [unrolled: 1-line block ×6, first 2 shown]
.LBB0_13:
	s_wait_alu 0xfffe
	s_or_b32 exec_lo, exec_lo, s1
	global_wb scope:SCOPE_SE
	s_wait_dscnt 0x0
	s_barrier_signal -1
	s_barrier_wait -1
	global_inv scope:SCOPE_SE
	s_and_saveexec_b32 s1, vcc_lo
	s_cbranch_execz .LBB0_15
; %bb.14:
	v_add_nc_u32_e32 v23, 0x200, v44
	v_add_nc_u32_e32 v25, 0x400, v44
	;; [unrolled: 1-line block ×3, first 2 shown]
	ds_load_2addr_b32 v[29:30], v44 offset0:77 offset1:154
	ds_load_2addr_b32 v[31:32], v23 offset0:103 offset1:180
	v_add_nc_u32_e32 v23, 0xa00, v44
	ds_load_2addr_b32 v[35:36], v25 offset0:129 offset1:206
	v_add_nc_u32_e32 v25, 0xc00, v44
	ds_load_2addr_b32 v[33:34], v26 offset0:27 offset1:104
	ds_load_2addr_b32 v[27:28], v23 offset0:53 offset1:130
	;; [unrolled: 1-line block ×3, first 2 shown]
	ds_load_b32 v79, v44
	s_wait_dscnt 0x6
	v_lshrrev_b32_e32 v85, 16, v29
	v_lshrrev_b32_e32 v82, 16, v30
	s_wait_dscnt 0x5
	v_lshrrev_b32_e32 v81, 16, v31
	v_lshrrev_b32_e32 v80, 16, v32
	;; [unrolled: 3-line block ×6, first 2 shown]
.LBB0_15:
	s_wait_alu 0xfffe
	s_or_b32 exec_lo, exec_lo, s1
	s_delay_alu instid0(VALU_DEP_1)
	v_sub_f16_e32 v23, v85, v73
	v_add_f16_e32 v37, v73, v85
	v_add_f16_e64 v134, v26, v29
	v_sub_f16_e64 v135, v29, v26
	s_wait_dscnt 0x0
	v_lshrrev_b32_e32 v95, 16, v79
	v_mul_f16_e32 v92, 0xb770, v23
	v_mul_f16_e32 v94, 0x3b15, v37
	;; [unrolled: 1-line block ×6, first 2 shown]
	v_mul_f16_e64 v132, 0xbbc4, v37
	v_sub_f16_e32 v37, v82, v74
	v_fma_f16 v38, v134, 0x3b15, -v92
	v_mul_f16_e32 v118, 0xb94e, v23
	v_add_f16_e64 v146, v25, v30
	v_fma_f16 v97, 0xb3a8, v135, v132
	v_mul_f16_e32 v96, 0xba95, v37
	v_add_f16_e32 v100, v74, v82
	v_mul_f16_e32 v98, 0xba95, v23
	v_fma_f16 v39, 0xb770, v135, v94
	v_add_f16_e32 v38, v38, v79
	v_fma_f16 v91, v134, 0xb9fd, -v118
	v_add_f16_e32 v106, v97, v95
	v_fma_f16 v101, v146, 0x388b, -v96
	v_sub_f16_e64 v147, v30, v25
	v_mul_f16_e32 v97, 0x388b, v100
	v_fma_f16 v40, v134, 0x388b, -v98
	v_add_f16_e32 v39, v39, v95
	v_mul_f16_e32 v102, 0xbbf1, v23
	v_mul_f16_e32 v107, 0xbb7b, v23
	v_fma_f16 v88, 0xbbf1, v135, v105
	v_mul_f16_e32 v126, 0xb3a8, v23
	v_add_f16_e32 v23, v91, v79
	v_fma_f16 v91, 0xb94e, v135, v121
	v_mul_f16_e32 v103, 0xbb7b, v37
	v_add_f16_e32 v38, v101, v38
	v_fma_f16 v101, 0xba95, v147, v97
	v_mul_f16_e32 v113, 0xbbc4, v100
	v_mul_f16_e64 v131, 0x2fb7, v100
	v_fma_f16 v86, 0xba95, v135, v99
	v_add_f16_e32 v40, v40, v79
	v_fma_f16 v89, v134, 0xb5ac, -v107
	v_fma_f16 v90, 0xbb7b, v135, v111
	v_add_f16_e32 v88, v88, v95
	v_add_f16_e32 v91, v91, v95
	v_mul_f16_e32 v104, 0xb5ac, v100
	v_mul_f16_e32 v109, 0xb3a8, v37
	v_fma_f16 v108, v146, 0xb5ac, -v103
	v_add_f16_e32 v39, v101, v39
	v_fma_f16 v101, 0xb3a8, v147, v113
	v_mul_f16_e32 v116, 0x394e, v37
	v_mul_f16_e32 v122, 0xb9fd, v100
	v_mul_f16_e64 v130, 0x3bf1, v37
	v_mul_f16_e64 v140, 0x3770, v37
	v_fma_f16 v37, 0x3bf1, v147, v131
	v_add_f16_e32 v86, v86, v95
	v_add_f16_e32 v89, v89, v79
	;; [unrolled: 1-line block ×3, first 2 shown]
	v_fma_f16 v93, v134, 0xbbc4, -v126
	v_fma_f16 v110, 0xbb7b, v147, v104
	v_add_f16_e32 v40, v108, v40
	v_add_f16_e32 v88, v101, v88
	v_fma_f16 v101, v146, 0xb9fd, -v116
	v_fma_f16 v108, 0x394e, v147, v122
	v_add_f16_e32 v37, v37, v91
	v_sub_f16_e32 v91, v81, v75
	v_add_f16_e32 v93, v93, v79
	v_add_f16_e32 v86, v110, v86
	v_fma_f16 v110, v146, 0x2fb7, -v130
	v_add_f16_e32 v89, v101, v89
	v_add_f16_e32 v90, v108, v90
	v_fma_f16 v101, v146, 0x3b15, -v140
	v_mul_f16_e64 v145, 0x3b15, v100
	v_add_f16_e32 v108, v75, v81
	v_add_f16_e64 v155, v28, v31
	v_mul_f16_e32 v100, 0xbbf1, v91
	v_fma_f16 v87, v134, 0x2fb7, -v102
	v_add_f16_e32 v23, v110, v23
	v_add_f16_e32 v93, v101, v93
	v_sub_f16_e64 v156, v31, v28
	v_mul_f16_e32 v101, 0x2fb7, v108
	v_fma_f16 v114, 0x3770, v147, v145
	v_mul_f16_e32 v110, 0xb3a8, v91
	v_fma_f16 v115, v155, 0x2fb7, -v100
	v_mul_f16_e32 v124, 0xb5ac, v108
	v_mul_f16_e64 v144, 0x388b, v108
	v_add_f16_e32 v87, v87, v79
	v_fma_f16 v112, v146, 0xbbc4, -v109
	v_fma_f16 v117, 0xbbf1, v156, v101
	v_add_f16_e32 v114, v114, v106
	v_fma_f16 v106, v155, 0xbbc4, -v110
	v_add_f16_e32 v38, v115, v38
	v_mul_f16_e32 v120, 0x3b7b, v91
	v_mul_f16_e32 v127, 0x3770, v91
	v_mul_f16_e64 v142, 0xba95, v91
	v_fma_f16 v115, 0x3b7b, v156, v124
	v_mul_f16_e64 v153, 0xb94e, v91
	v_fma_f16 v91, 0xba95, v156, v144
	v_mul_f16_e64 v158, 0xb9fd, v108
	v_add_f16_e32 v87, v112, v87
	v_mul_f16_e32 v112, 0xbbc4, v108
	v_add_f16_e32 v39, v117, v39
	v_add_f16_e32 v40, v106, v40
	v_fma_f16 v106, v155, 0xb5ac, -v120
	v_mul_f16_e64 v136, 0x3b15, v108
	v_fma_f16 v117, v155, 0x3b15, -v127
	v_add_f16_e32 v88, v115, v88
	v_add_f16_e32 v37, v91, v37
	;; [unrolled: 1-line block ×3, first 2 shown]
	v_fma_f16 v115, 0xb94e, v156, v158
	v_fma_f16 v119, 0xb3a8, v156, v112
	v_add_f16_e32 v87, v106, v87
	v_fma_f16 v106, 0x3770, v156, v136
	v_add_f16_e32 v89, v117, v89
	v_sub_f16_e32 v117, v80, v76
	v_sub_f16_e64 v166, v32, v27
	v_add_f16_e64 v128, v115, v114
	v_mul_f16_e32 v115, 0xb9fd, v91
	v_add_f16_e32 v86, v119, v86
	v_fma_f16 v119, v155, 0x388b, -v142
	v_add_f16_e32 v90, v106, v90
	v_add_f16_e64 v164, v27, v32
	v_mul_f16_e32 v106, 0xbb7b, v117
	v_fma_f16 v108, v155, 0xb9fd, -v153
	v_mul_f16_e32 v114, 0x394e, v117
	v_fma_f16 v125, 0x394e, v166, v115
	v_mul_f16_e64 v161, 0x3a95, v117
	v_add_f16_e32 v23, v119, v23
	v_fma_f16 v119, v164, 0xb5ac, -v106
	v_add_f16_e32 v93, v108, v93
	v_mul_f16_e32 v108, 0xb5ac, v91
	v_mul_f16_e64 v137, 0x3b15, v91
	v_fma_f16 v123, v164, 0xb9fd, -v114
	v_add_f16_e32 v86, v125, v86
	v_mul_f16_e64 v148, 0x2fb7, v91
	v_mul_f16_e64 v151, 0x33a8, v117
	v_fma_f16 v125, v164, 0x388b, -v161
	v_add_f16_e32 v38, v119, v38
	v_fma_f16 v119, 0xbb7b, v166, v108
	v_mul_f16_e64 v133, 0x3770, v117
	v_fma_f16 v129, 0x3770, v166, v137
	v_add_f16_e32 v40, v123, v40
	v_mul_f16_e64 v139, 0xbbf1, v117
	v_mul_f16_e64 v152, 0xbbc4, v91
	v_fma_f16 v117, 0xbbf1, v166, v148
	v_fma_f16 v123, v164, 0xbbc4, -v151
	v_mul_f16_e64 v165, 0x388b, v91
	v_add_f16_e32 v91, v125, v93
	v_sub_f16_e32 v93, v84, v77
	v_add_f16_e32 v39, v119, v39
	v_fma_f16 v119, v164, 0x3b15, -v133
	v_add_f16_e64 v88, v129, v88
	v_add_f16_e32 v90, v117, v90
	v_add_f16_e32 v23, v123, v23
	v_add_f16_e64 v129, v77, v84
	v_fma_f16 v138, 0x3a95, v166, v165
	v_add_f16_e64 v169, v34, v35
	v_mul_f16_e32 v117, 0xb94e, v93
	v_mul_f16_e32 v123, 0x3bf1, v93
	v_add_f16_e32 v87, v119, v87
	v_fma_f16 v119, v164, 0x2fb7, -v139
	v_sub_f16_e64 v170, v35, v34
	v_mul_f16_e64 v125, 0x2fb7, v129
	v_add_f16_e64 v138, v138, v128
	v_fma_f16 v128, v169, 0xb9fd, -v117
	v_fma_f16 v149, v169, 0x2fb7, -v123
	v_mul_f16_e64 v143, 0xba95, v93
	v_add_f16_e32 v89, v119, v89
	v_fma_f16 v119, 0x33a8, v166, v152
	v_fma_f16 v150, 0x3bf1, v170, v125
	v_add_f16_e64 v38, v128, v38
	v_add_f16_e64 v40, v149, v40
	v_fma_f16 v128, v169, 0x388b, -v143
	v_mul_f16_e64 v149, 0x388b, v129
	v_mul_f16_e64 v162, 0x3770, v93
	v_add_f16_e32 v37, v119, v37
	v_mul_f16_e64 v119, 0xb9fd, v129
	v_add_f16_e64 v86, v150, v86
	v_mul_f16_e64 v150, 0x33a8, v93
	v_add_f16_e64 v167, v128, v87
	v_fma_f16 v87, 0xba95, v170, v149
	v_fma_f16 v154, v169, 0x3b15, -v162
	v_mul_f16_e64 v163, 0x3b15, v129
	v_mul_f16_e64 v168, 0xbb7b, v93
	v_add_f16_e32 v93, v78, v83
	v_mul_f16_e64 v175, 0xb5ac, v129
	v_fma_f16 v141, 0xb94e, v170, v119
	v_mul_f16_e64 v157, 0xbbc4, v129
	v_fma_f16 v128, v169, 0xbbc4, -v150
	v_add_f16_e64 v171, v87, v88
	v_add_f16_e64 v178, v154, v23
	v_fma_f16 v23, 0x3770, v170, v163
	v_sub_f16_e64 v176, v83, v78
	v_sub_f16_e64 v174, v36, v33
	v_mul_f16_e64 v129, 0xbbc4, v93
	v_fma_f16 v88, 0xbb7b, v170, v175
	v_add_f16_e64 v39, v141, v39
	v_add_f16_e64 v172, v128, v89
	;; [unrolled: 1-line block ×3, first 2 shown]
	v_mul_f16_e64 v128, 0xb3a8, v176
	v_fma_f16 v87, v169, 0xb5ac, -v168
	v_add_f16_e64 v179, v23, v37
	v_fma_f16 v37, 0xb3a8, v174, v129
	v_add_f16_e64 v181, v88, v138
	v_mul_f16_e64 v138, 0x3770, v176
	v_fma_f16 v141, 0x33a8, v170, v157
	v_fma_f16 v89, v173, 0xbbc4, -v128
	v_add_f16_e64 v180, v87, v91
	v_add_f16_e32 v87, v37, v39
	v_mul_f16_e64 v154, 0xb94e, v176
	v_mul_f16_e64 v159, 0xb9fd, v93
	v_fma_f16 v37, v173, 0x3b15, -v138
	v_mul_f16_e64 v160, 0x3a95, v176
	v_add_f16_e64 v90, v141, v90
	v_add_f16_e32 v23, v89, v38
	v_mul_f16_e64 v141, 0x3b15, v93
	v_fma_f16 v89, v173, 0xb9fd, -v154
	v_fma_f16 v91, 0xb94e, v174, v159
	v_add_f16_e32 v38, v37, v40
	v_fma_f16 v40, v173, 0x388b, -v160
	v_fma_f16 v39, 0x3770, v174, v141
	v_add_f16_e64 v37, v89, v167
	v_add_f16_e64 v89, v91, v171
	v_mul_f16_e64 v167, 0x388b, v93
	v_add_f16_e64 v40, v40, v172
	v_mul_f16_e64 v171, 0xbb7b, v176
	v_mul_f16_e64 v172, 0xb5ac, v93
	;; [unrolled: 1-line block ×4, first 2 shown]
	v_add_f16_e32 v88, v39, v86
	v_fma_f16 v39, 0x3a95, v174, v167
	v_fma_f16 v86, v173, 0xb5ac, -v171
	v_fma_f16 v93, 0xbb7b, v174, v172
	v_fma_f16 v182, v173, 0x2fb7, -v176
	v_fma_f16 v183, 0x3bf1, v174, v177
	v_add_f16_e32 v91, v39, v90
	v_add_f16_e64 v39, v86, v178
	v_add_f16_e64 v93, v93, v179
	;; [unrolled: 1-line block ×4, first 2 shown]
	global_wb scope:SCOPE_SE
	s_barrier_signal -1
	s_barrier_wait -1
	global_inv scope:SCOPE_SE
	s_and_saveexec_b32 s1, vcc_lo
	s_cbranch_execz .LBB0_17
; %bb.16:
	v_mul_f16_e64 v180, 0x388b, v134
	v_mul_f16_e64 v190, 0xb5ac, v146
	;; [unrolled: 1-line block ×3, first 2 shown]
	v_add_f16_e32 v85, v85, v95
	v_add_f16_e32 v29, v29, v79
	v_add_f16_e64 v98, v180, v98
	v_add_f16_e64 v103, v190, v103
	v_mul_f16_e64 v210, 0xb9fd, v164
	v_add_f16_e32 v82, v82, v85
	v_add_f16_e32 v29, v30, v29
	;; [unrolled: 1-line block ×3, first 2 shown]
	v_mul_f16_e64 v220, 0x2fb7, v169
	v_add_f16_e64 v30, v210, v114
	v_add_f16_e32 v81, v81, v82
	v_add_f16_e32 v29, v31, v29
	;; [unrolled: 1-line block ×3, first 2 shown]
	v_add_f16_e64 v103, v200, v110
	v_mul_f16_e64 v228, 0x3b15, v173
	v_add_f16_e64 v31, v220, v123
	v_add_f16_e32 v80, v80, v81
	v_add_f16_e32 v29, v32, v29
	;; [unrolled: 1-line block ×3, first 2 shown]
	v_mul_f16_e64 v178, 0x3b15, v134
	v_mul_f16_e64 v179, 0xb770, v135
	v_add_f16_e32 v80, v84, v80
	v_add_f16_e32 v29, v35, v29
	v_add_f16_e32 v30, v30, v98
	v_mul_f16_e64 v181, 0xba95, v135
	v_mul_f16_e64 v182, 0x2fb7, v134
	;; [unrolled: 1-line block ×3, first 2 shown]
	v_add_f16_e32 v29, v36, v29
	v_add_f16_e32 v30, v31, v30
	v_add_f16_e64 v31, v228, v138
	v_mul_f16_e64 v184, 0xb5ac, v134
	v_mul_f16_e64 v185, 0xbb7b, v135
	;; [unrolled: 1-line block ×4, first 2 shown]
	v_add_f16_e32 v30, v31, v30
	v_add_f16_e32 v31, v83, v80
	v_mul_f16_e64 v134, 0xbbc4, v134
	v_mul_f16_e64 v135, 0xb3a8, v135
	v_add_f16_e32 v29, v33, v29
	v_mul_f16_e64 v188, 0x388b, v146
	v_add_f16_e32 v31, v78, v31
	v_mul_f16_e64 v189, 0xba95, v147
	v_mul_f16_e64 v191, 0xbb7b, v147
	v_sub_f16_e64 v99, v99, v181
	v_sub_f16_e64 v35, v94, v179
	v_add_f16_e64 v36, v178, v92
	v_mul_f16_e64 v192, 0xbbc4, v146
	v_mul_f16_e64 v193, 0xb3a8, v147
	;; [unrolled: 1-line block ×4, first 2 shown]
	v_sub_f16_e64 v111, v111, v185
	v_add_f16_e64 v107, v184, v107
	v_sub_f16_e64 v105, v105, v183
	v_add_f16_e64 v102, v182, v102
	v_mul_f16_e64 v196, 0x2fb7, v146
	v_mul_f16_e64 v197, 0x3bf1, v147
	;; [unrolled: 1-line block ×4, first 2 shown]
	v_sub_f16_e64 v132, v132, v135
	v_add_f16_e64 v126, v134, v126
	v_sub_f16_e64 v121, v121, v187
	v_add_f16_e64 v118, v186, v118
	v_add_f16_e32 v31, v77, v31
	v_add_f16_e32 v29, v34, v29
	v_mul_f16_e64 v198, 0x2fb7, v155
	v_mul_f16_e64 v199, 0xbbf1, v156
	;; [unrolled: 1-line block ×3, first 2 shown]
	v_add_f16_e32 v99, v99, v95
	v_sub_f16_e64 v104, v104, v191
	v_add_f16_e32 v35, v35, v95
	v_sub_f16_e64 v80, v97, v189
	v_add_f16_e32 v33, v36, v79
	v_add_f16_e64 v36, v188, v96
	v_mul_f16_e64 v202, 0xb5ac, v155
	v_mul_f16_e64 v203, 0x3b7b, v156
	;; [unrolled: 1-line block ×4, first 2 shown]
	v_add_f16_e32 v111, v111, v95
	v_sub_f16_e64 v122, v122, v195
	v_add_f16_e32 v107, v107, v79
	v_add_f16_e64 v116, v194, v116
	v_add_f16_e32 v105, v105, v95
	v_sub_f16_e64 v113, v113, v193
	v_add_f16_e32 v102, v102, v79
	v_add_f16_e64 v109, v192, v109
	v_mul_f16_e64 v206, 0x388b, v155
	v_mul_f16_e64 v207, 0xba95, v156
	;; [unrolled: 1-line block ×4, first 2 shown]
	v_add_f16_e64 v132, v132, v95
	v_sub_f16_e64 v145, v145, v147
	v_add_f16_e32 v126, v126, v79
	v_add_f16_e64 v140, v146, v140
	v_add_f16_e32 v121, v121, v95
	v_sub_f16_e64 v131, v131, v197
	v_add_f16_e32 v118, v118, v79
	v_add_f16_e64 v130, v196, v130
	v_add_f16_e32 v31, v76, v31
	v_add_f16_e32 v27, v27, v29
	v_mul_f16_e64 v208, 0xb5ac, v164
	v_mul_f16_e64 v209, 0xbb7b, v166
	;; [unrolled: 1-line block ×3, first 2 shown]
	v_add_f16_e32 v99, v104, v99
	v_sub_f16_e64 v104, v112, v201
	v_add_f16_e32 v35, v80, v35
	v_sub_f16_e64 v34, v101, v199
	v_add_f16_e32 v33, v36, v33
	v_add_f16_e64 v36, v198, v100
	v_mul_f16_e64 v212, 0x3b15, v164
	v_mul_f16_e64 v213, 0x3770, v166
	;; [unrolled: 1-line block ×4, first 2 shown]
	v_add_f16_e32 v111, v122, v111
	v_sub_f16_e64 v122, v136, v205
	v_add_f16_e32 v107, v116, v107
	v_add_f16_e64 v116, v204, v127
	v_add_f16_e32 v105, v113, v105
	v_sub_f16_e64 v113, v124, v203
	v_add_f16_e32 v102, v109, v102
	v_add_f16_e64 v109, v202, v120
	v_mul_f16_e64 v216, 0xbbc4, v164
	v_mul_f16_e64 v217, 0x33a8, v166
	;; [unrolled: 1-line block ×4, first 2 shown]
	v_add_f16_e64 v132, v145, v132
	v_sub_f16_e64 v145, v158, v156
	v_add_f16_e64 v126, v140, v126
	v_add_f16_e64 v140, v155, v153
	;; [unrolled: 1-line block ×3, first 2 shown]
	v_sub_f16_e64 v131, v144, v207
	v_add_f16_e64 v118, v130, v118
	v_add_f16_e64 v130, v206, v142
	v_add_f16_e32 v31, v75, v31
	v_add_f16_e32 v27, v28, v27
	v_mul_f16_e64 v218, 0xb9fd, v169
	v_mul_f16_e64 v219, 0xb94e, v170
	;; [unrolled: 1-line block ×3, first 2 shown]
	v_add_f16_e32 v99, v104, v99
	v_sub_f16_e64 v104, v115, v211
	v_add_f16_e32 v29, v34, v35
	v_sub_f16_e64 v34, v108, v209
	v_add_f16_e32 v33, v36, v33
	v_add_f16_e64 v28, v208, v106
	v_mul_f16_e64 v222, 0x388b, v169
	v_mul_f16_e64 v223, 0xba95, v170
	;; [unrolled: 1-line block ×4, first 2 shown]
	v_add_f16_e32 v111, v122, v111
	v_sub_f16_e64 v122, v148, v215
	v_add_f16_e32 v107, v116, v107
	v_add_f16_e64 v116, v214, v139
	v_add_f16_e32 v105, v113, v105
	v_sub_f16_e64 v113, v137, v213
	v_add_f16_e32 v102, v109, v102
	v_add_f16_e64 v109, v212, v133
	v_mul_f16_e64 v135, 0x3b15, v169
	v_mul_f16_e64 v226, 0x3770, v170
	;; [unrolled: 1-line block ×4, first 2 shown]
	v_add_f16_e64 v132, v145, v132
	v_sub_f16_e64 v145, v165, v166
	v_add_f16_e64 v126, v140, v126
	v_add_f16_e64 v140, v164, v161
	;; [unrolled: 1-line block ×3, first 2 shown]
	v_sub_f16_e64 v131, v152, v217
	v_add_f16_e64 v118, v130, v118
	v_add_f16_e64 v130, v216, v151
	v_add_f16_e32 v31, v74, v31
	v_add_f16_e32 v25, v25, v27
	v_mul_f16_e64 v147, 0xbbc4, v173
	v_mul_f16_e64 v227, 0xb3a8, v174
	;; [unrolled: 1-line block ×3, first 2 shown]
	v_add_f16_e32 v85, v104, v99
	v_sub_f16_e64 v99, v125, v221
	v_add_f16_e32 v29, v34, v29
	v_sub_f16_e64 v34, v119, v219
	v_add_f16_e32 v27, v28, v33
	v_add_f16_e64 v28, v218, v117
	v_mul_f16_e64 v156, 0xb9fd, v173
	v_mul_f16_e64 v134, 0xb94e, v174
	;; [unrolled: 1-line block ×4, first 2 shown]
	v_add_f16_e32 v111, v122, v111
	v_sub_f16_e64 v122, v157, v225
	v_add_f16_e32 v107, v116, v107
	v_add_f16_e64 v116, v224, v150
	v_add_f16_e32 v105, v113, v105
	v_sub_f16_e64 v113, v149, v223
	v_add_f16_e32 v102, v109, v102
	v_add_f16_e64 v109, v222, v143
	v_mul_f16_e64 v165, 0x3bf1, v174
	v_add_f16_e64 v132, v145, v132
	v_sub_f16_e64 v145, v175, v170
	v_mul_f16_e64 v153, 0xb5ac, v173
	v_mul_f16_e64 v155, 0xbb7b, v174
	;; [unrolled: 1-line block ×3, first 2 shown]
	v_add_f16_e64 v126, v140, v126
	v_add_f16_e64 v140, v169, v168
	;; [unrolled: 1-line block ×3, first 2 shown]
	v_sub_f16_e64 v131, v163, v226
	v_add_f16_e64 v118, v130, v118
	v_add_f16_e64 v130, v135, v162
	v_add_f16_e32 v31, v73, v31
	v_add_f16_e32 v25, v26, v25
	;; [unrolled: 1-line block ×3, first 2 shown]
	v_sub_f16_e64 v32, v141, v229
	v_add_f16_e32 v29, v34, v29
	v_sub_f16_e64 v26, v129, v227
	v_add_f16_e32 v27, v28, v27
	v_add_f16_e64 v28, v147, v128
	v_add_f16_e32 v111, v122, v111
	v_sub_f16_e64 v122, v167, v146
	v_add_f16_e32 v107, v116, v107
	v_add_f16_e64 v116, v158, v160
	;; [unrolled: 4-line block ×3, first 2 shown]
	v_add_f16_e64 v132, v145, v132
	v_sub_f16_e64 v145, v177, v165
	v_add_f16_e64 v126, v140, v126
	v_add_f16_e64 v140, v161, v176
	;; [unrolled: 1-line block ×3, first 2 shown]
	v_sub_f16_e64 v131, v172, v155
	v_add_f16_e64 v118, v130, v118
	v_add_f16_e64 v130, v153, v171
	v_lshlrev_b32_e32 v31, 16, v31
	v_and_b32_e32 v25, 0xffff, v25
	v_and_b32_e32 v33, 0xffff, v46
	v_add_f16_e32 v32, v32, v82
	v_add_f16_e32 v26, v26, v29
	;; [unrolled: 1-line block ×7, first 2 shown]
	v_add_f16_e64 v132, v145, v132
	v_add_f16_e64 v126, v140, v126
	;; [unrolled: 1-line block ×4, first 2 shown]
	v_or_b32_e32 v25, v31, v25
	v_lshl_add_u32 v29, v33, 2, v43
	v_pack_b32_f16 v30, v30, v32
	v_pack_b32_f16 v26, v27, v26
	;; [unrolled: 1-line block ×6, first 2 shown]
	v_perm_b32 v33, v93, v39, 0x5040100
	v_perm_b32 v34, v90, v86, 0x5040100
	;; [unrolled: 1-line block ×6, first 2 shown]
	ds_store_b32 v29, v25
	ds_store_2addr_b32 v29, v26, v30 offset0:1 offset1:2
	ds_store_2addr_b32 v29, v28, v27 offset0:3 offset1:4
	;; [unrolled: 1-line block ×6, first 2 shown]
.LBB0_17:
	s_wait_alu 0xfffe
	s_or_b32 exec_lo, exec_lo, s1
	v_add_nc_u32_e32 v27, 0x400, v45
	v_add_nc_u32_e32 v32, 0x800, v45
	global_wb scope:SCOPE_SE
	s_wait_dscnt 0x0
	s_barrier_signal -1
	s_barrier_wait -1
	global_inv scope:SCOPE_SE
	ds_load_2addr_b32 v[25:26], v45 offset1:143
	ds_load_2addr_b32 v[29:30], v27 offset0:30 offset1:173
	ds_load_2addr_b32 v[27:28], v32 offset0:60 offset1:203
	ds_load_b32 v31, v45 offset:3432
	s_and_saveexec_b32 s1, s0
	s_cbranch_execz .LBB0_19
; %bb.18:
	v_add_nc_u32_e32 v23, 0x200, v45
	v_add_nc_u32_e32 v24, 0xc00, v45
	ds_load_b32 v86, v45 offset:364
	ds_load_2addr_b32 v[37:38], v32 offset0:8 offset1:151
	ds_load_2addr_b32 v[39:40], v23 offset0:106 offset1:249
	;; [unrolled: 1-line block ×3, first 2 shown]
	s_wait_dscnt 0x3
	v_lshrrev_b32_e32 v90, 16, v86
	s_wait_dscnt 0x2
	v_lshrrev_b32_e32 v89, 16, v37
	v_lshrrev_b32_e32 v88, 16, v38
	s_wait_dscnt 0x1
	v_lshrrev_b32_e32 v93, 16, v39
	v_lshrrev_b32_e32 v91, 16, v40
	s_wait_dscnt 0x0
	v_lshrrev_b32_e32 v87, 16, v23
	v_lshrrev_b32_e32 v62, 16, v24
.LBB0_19:
	s_wait_alu 0xfffe
	s_or_b32 exec_lo, exec_lo, s1
	s_wait_dscnt 0x3
	v_lshrrev_b32_e32 v32, 16, v26
	s_wait_dscnt 0x2
	v_lshrrev_b32_e32 v33, 16, v29
	v_lshrrev_b32_e32 v34, 16, v30
	v_mul_f16_e32 v35, v61, v26
	s_wait_dscnt 0x1
	v_lshrrev_b32_e32 v36, 16, v27
	v_mul_f16_e32 v46, v61, v32
	v_lshrrev_b32_e32 v61, 16, v28
	s_wait_dscnt 0x0
	v_lshrrev_b32_e32 v73, 16, v31
	v_fma_f16 v32, v4, v32, -v35
	v_mul_f16_e32 v35, v60, v33
	v_fmac_f16_e32 v46, v4, v26
	v_mul_f16_e32 v4, v60, v29
	v_mul_f16_e32 v26, v59, v34
	v_mul_f16_e32 v59, v59, v30
	v_mul_f16_e32 v60, v57, v36
	v_fmac_f16_e32 v35, v5, v29
	v_fma_f16 v4, v5, v33, -v4
	v_fmac_f16_e32 v26, v6, v30
	v_fma_f16 v5, v6, v34, -v59
	v_mul_f16_e32 v6, v58, v73
	v_mul_f16_e32 v29, v58, v31
	;; [unrolled: 1-line block ×4, first 2 shown]
	v_fmac_f16_e32 v60, v7, v27
	v_mul_f16_e32 v27, v57, v27
	v_fmac_f16_e32 v6, v20, v31
	v_fma_f16 v20, v20, v73, -v29
	v_fmac_f16_e32 v30, v19, v28
	v_fma_f16 v19, v19, v61, -v33
	v_fma_f16 v7, v7, v36, -v27
	v_add_f16_e32 v27, v46, v6
	v_add_f16_e32 v28, v32, v20
	;; [unrolled: 1-line block ×4, first 2 shown]
	v_sub_f16_e32 v20, v32, v20
	v_sub_f16_e32 v4, v4, v19
	v_add_f16_e32 v19, v26, v60
	v_add_f16_e32 v32, v5, v7
	v_sub_f16_e32 v5, v7, v5
	v_add_f16_e32 v7, v29, v27
	v_add_f16_e32 v33, v31, v28
	v_sub_f16_e32 v30, v35, v30
	v_sub_f16_e32 v35, v31, v28
	;; [unrolled: 1-line block ×4, first 2 shown]
	v_add_f16_e32 v32, v32, v33
	v_lshrrev_b32_e32 v33, 16, v25
	v_add_f16_e32 v7, v19, v7
	v_sub_f16_e32 v26, v60, v26
	v_sub_f16_e32 v6, v46, v6
	;; [unrolled: 1-line block ×3, first 2 shown]
	v_add_f16_e32 v33, v32, v33
	v_add_f16_e32 v25, v7, v25
	v_sub_f16_e32 v27, v27, v19
	v_sub_f16_e32 v29, v19, v29
	v_add_f16_e32 v19, v26, v30
	v_add_f16_e32 v36, v5, v4
	v_sub_f16_e32 v46, v26, v30
	v_sub_f16_e32 v56, v5, v4
	v_lshlrev_b32_e32 v57, 16, v33
	v_and_b32_e32 v58, 0xffff, v25
	v_sub_f16_e32 v30, v30, v6
	v_sub_f16_e32 v4, v4, v20
	;; [unrolled: 1-line block ×4, first 2 shown]
	v_add_f16_e32 v6, v19, v6
	v_add_f16_e32 v19, v36, v20
	v_or_b32_e32 v20, v57, v58
	v_mul_f16_e32 v27, 0x3a52, v27
	v_mul_f16_e32 v28, 0x3a52, v28
	;; [unrolled: 1-line block ×8, first 2 shown]
	v_fmac_f16_e32 v25, 0xbcab, v7
	v_fmac_f16_e32 v33, 0xbcab, v32
	v_fmamk_f16 v7, v29, 0x2b26, v27
	v_fmamk_f16 v29, v31, 0x2b26, v28
	v_fma_f16 v31, v34, 0x39e0, -v36
	v_fma_f16 v32, v35, 0x39e0, -v57
	;; [unrolled: 1-line block ×4, first 2 shown]
	v_fmamk_f16 v34, v26, 0xb574, v46
	v_fmamk_f16 v35, v5, 0xb574, v56
	v_fma_f16 v30, v30, 0xbb00, -v46
	v_fma_f16 v4, v4, 0xbb00, -v56
	;; [unrolled: 1-line block ×4, first 2 shown]
	v_add_f16_e32 v7, v7, v25
	v_add_f16_e32 v29, v29, v33
	v_fmac_f16_e32 v34, 0xb70e, v6
	v_fmac_f16_e32 v35, 0xb70e, v19
	v_add_f16_e32 v31, v31, v25
	v_add_f16_e32 v32, v32, v33
	;; [unrolled: 1-line block ×4, first 2 shown]
	v_fmac_f16_e32 v30, 0xb70e, v6
	v_fmac_f16_e32 v5, 0xb70e, v19
	;; [unrolled: 1-line block ×4, first 2 shown]
	v_add_f16_e32 v6, v35, v7
	v_sub_f16_e32 v19, v29, v34
	v_add_f16_e32 v28, v5, v25
	v_sub_f16_e32 v33, v27, v26
	v_sub_f16_e32 v36, v31, v4
	v_add_f16_e32 v46, v30, v32
	v_add_f16_e32 v4, v4, v31
	v_sub_f16_e32 v30, v32, v30
	v_sub_f16_e32 v5, v25, v5
	v_add_f16_e32 v25, v26, v27
	v_sub_f16_e32 v7, v7, v35
	v_add_f16_e32 v26, v34, v29
	v_pack_b32_f16 v6, v6, v19
	v_pack_b32_f16 v19, v28, v33
	;; [unrolled: 1-line block ×6, first 2 shown]
	global_wb scope:SCOPE_SE
	s_barrier_signal -1
	s_barrier_wait -1
	global_inv scope:SCOPE_SE
	ds_store_2addr_b32 v55, v20, v6 offset1:13
	ds_store_2addr_b32 v55, v19, v27 offset0:26 offset1:39
	ds_store_2addr_b32 v55, v4, v5 offset0:52 offset1:65
	ds_store_b32 v55, v7 offset:312
	s_and_saveexec_b32 s1, s0
	s_cbranch_execz .LBB0_21
; %bb.20:
	v_mul_f16_e32 v5, v54, v62
	v_mul_f16_e32 v20, v52, v87
	;; [unrolled: 1-line block ×5, first 2 shown]
	v_fmac_f16_e32 v5, v18, v24
	v_mul_f16_e32 v24, v54, v24
	v_fmac_f16_e32 v20, v17, v23
	v_mul_f16_e32 v23, v52, v23
	v_mul_f16_e32 v6, v50, v88
	;; [unrolled: 1-line block ×3, first 2 shown]
	v_fma_f16 v18, v18, v62, -v24
	v_mul_f16_e32 v24, v51, v40
	v_fmac_f16_e32 v4, v0, v39
	v_fmac_f16_e32 v19, v1, v40
	v_fma_f16 v0, v0, v93, -v27
	v_mul_f16_e32 v27, v49, v37
	v_mul_f16_e32 v28, v50, v38
	v_fma_f16 v17, v17, v87, -v23
	v_fma_f16 v1, v1, v91, -v24
	v_fmac_f16_e32 v6, v3, v38
	v_fmac_f16_e32 v7, v2, v37
	v_fma_f16 v2, v2, v89, -v27
	v_fma_f16 v3, v3, v88, -v28
	v_add_f16_e32 v24, v18, v0
	v_add_f16_e32 v27, v17, v1
	v_sub_f16_e32 v25, v4, v5
	v_sub_f16_e32 v26, v6, v7
	;; [unrolled: 1-line block ×3, first 2 shown]
	v_add_f16_e32 v29, v2, v3
	v_add_f16_e32 v31, v27, v24
	;; [unrolled: 1-line block ×3, first 2 shown]
	v_sub_f16_e32 v30, v25, v26
	v_sub_f16_e32 v28, v26, v23
	v_add_f16_e32 v26, v26, v23
	v_add_f16_e32 v31, v29, v31
	;; [unrolled: 1-line block ×4, first 2 shown]
	v_sub_f16_e32 v2, v3, v2
	v_add_f16_e32 v19, v26, v25
	v_add_f16_e32 v34, v90, v31
	;; [unrolled: 1-line block ×3, first 2 shown]
	v_sub_f16_e32 v1, v1, v17
	v_sub_f16_e32 v0, v0, v18
	v_sub_f16_e32 v32, v24, v29
	v_fmamk_f16 v7, v31, 0xbcab, v34
	v_sub_f16_e32 v31, v4, v6
	v_add_f16_e32 v26, v6, v26
	v_sub_f16_e32 v18, v2, v1
	v_sub_f16_e32 v36, v0, v2
	v_add_f16_e32 v2, v2, v1
	v_mul_f16_e32 v3, 0x3a52, v31
	v_sub_f16_e32 v6, v6, v5
	v_add_f16_e32 v17, v86, v26
	v_sub_f16_e32 v23, v23, v25
	v_mul_f16_e32 v32, 0x3a52, v32
	v_sub_f16_e32 v29, v29, v27
	v_add_f16_e32 v2, v2, v0
	v_sub_f16_e32 v0, v1, v0
	v_mul_f16_e32 v28, 0x3846, v28
	v_fmamk_f16 v35, v6, 0x2b26, v3
	v_fmamk_f16 v26, v26, 0xbcab, v17
	v_mul_f16_e32 v18, 0x3846, v18
	v_mul_f16_e32 v37, 0xbb00, v23
	v_sub_f16_e32 v24, v27, v24
	v_fmamk_f16 v20, v29, 0x2b26, v32
	v_mul_f16_e32 v29, 0x2b26, v29
	v_mul_f16_e32 v6, 0x2b26, v6
	v_sub_f16_e32 v4, v5, v4
	v_mul_f16_e32 v27, 0xbb00, v0
	v_fmamk_f16 v33, v30, 0xb574, v28
	v_add_f16_e32 v25, v35, v26
	v_fmamk_f16 v35, v36, 0xb574, v18
	v_fma_f16 v1, v30, 0x3574, -v37
	v_fma_f16 v5, v24, 0xb9e0, -v32
	v_fma_f16 v3, v4, 0xb9e0, -v3
	v_fma_f16 v27, v36, 0x3574, -v27
	v_fma_f16 v24, v24, 0x39e0, -v29
	v_fma_f16 v23, v23, 0xbb00, -v28
	v_fma_f16 v0, v0, 0xbb00, -v18
	v_fma_f16 v4, v4, 0x39e0, -v6
	v_fmac_f16_e32 v33, 0xb70e, v19
	v_add_f16_e32 v20, v20, v7
	v_fmac_f16_e32 v35, 0xb70e, v2
	v_fmac_f16_e32 v1, 0xb70e, v19
	v_add_f16_e32 v5, v5, v7
	v_mul_u32_u24_e32 v18, 0x5b, v48
	v_add_f16_e32 v3, v3, v26
	v_fmac_f16_e32 v27, 0xb70e, v2
	v_add_f16_e32 v6, v24, v7
	v_fmac_f16_e32 v23, 0xb70e, v19
	v_fmac_f16_e32 v0, 0xb70e, v2
	v_add_f16_e32 v2, v4, v26
	v_add_f16_e32 v31, v33, v20
	;; [unrolled: 1-line block ×3, first 2 shown]
	v_sub_f16_e32 v1, v5, v1
	v_add_nc_u32_e32 v5, v18, v47
	v_sub_f16_e32 v18, v20, v33
	v_add_f16_e32 v20, v35, v25
	v_sub_f16_e32 v7, v3, v27
	v_sub_f16_e32 v19, v6, v23
	v_add_f16_e32 v24, v0, v2
	v_add_f16_e32 v6, v23, v6
	;; [unrolled: 1-line block ×3, first 2 shown]
	v_sub_f16_e32 v0, v2, v0
	v_sub_f16_e32 v30, v25, v35
	v_lshl_add_u32 v2, v5, 2, v43
	v_pack_b32_f16 v5, v17, v34
	v_pack_b32_f16 v17, v20, v18
	;; [unrolled: 1-line block ×7, first 2 shown]
	ds_store_2addr_b32 v2, v5, v17 offset1:13
	ds_store_2addr_b32 v2, v1, v0 offset0:26 offset1:39
	ds_store_2addr_b32 v2, v3, v4 offset0:52 offset1:65
	ds_store_b32 v2, v6 offset:312
.LBB0_21:
	s_wait_alu 0xfffe
	s_or_b32 exec_lo, exec_lo, s1
	v_add_nc_u32_e32 v2, 0x400, v45
	global_wb scope:SCOPE_SE
	s_wait_dscnt 0x0
	s_barrier_signal -1
	s_barrier_wait -1
	global_inv scope:SCOPE_SE
	ds_load_2addr_b32 v[0:1], v45 offset0:91 offset1:182
	ds_load_2addr_b32 v[2:3], v2 offset0:17 offset1:108
	v_add_nc_u32_e32 v4, 0x600, v45
	v_add_nc_u32_e32 v6, 0x800, v45
	;; [unrolled: 1-line block ×3, first 2 shown]
	ds_load_2addr_b32 v[4:5], v4 offset0:71 offset1:162
	ds_load_2addr_b32 v[6:7], v6 offset0:125 offset1:216
	;; [unrolled: 1-line block ×3, first 2 shown]
	ds_load_b32 v19, v45
	s_wait_dscnt 0x5
	v_lshrrev_b32_e32 v20, 16, v0
	v_lshrrev_b32_e32 v23, 16, v1
	v_mul_f16_e32 v24, v72, v0
	v_mul_f16_e32 v25, v71, v1
	s_wait_dscnt 0x4
	v_lshrrev_b32_e32 v26, 16, v2
	v_lshrrev_b32_e32 v27, 16, v3
	v_mul_f16_e32 v34, v72, v20
	v_fma_f16 v20, v12, v20, -v24
	v_mul_f16_e32 v24, v71, v23
	v_fma_f16 v23, v13, v23, -v25
	v_mul_f16_e32 v25, v70, v26
	v_mul_f16_e32 v35, v70, v2
	v_fmac_f16_e32 v34, v12, v0
	v_mul_f16_e32 v0, v69, v27
	s_wait_dscnt 0x3
	v_lshrrev_b32_e32 v28, 16, v4
	v_fmac_f16_e32 v25, v14, v2
	s_wait_dscnt 0x0
	v_lshrrev_b32_e32 v2, 16, v19
	v_lshrrev_b32_e32 v29, 16, v5
	v_fmac_f16_e32 v24, v13, v1
	v_mul_f16_e32 v1, v69, v3
	v_fma_f16 v12, v14, v26, -v35
	v_fmac_f16_e32 v0, v15, v3
	v_add_f16_e32 v3, v20, v2
	v_add_f16_e32 v14, v34, v19
	v_mul_f16_e32 v13, v68, v28
	v_fma_f16 v1, v15, v27, -v1
	v_mul_f16_e32 v15, v67, v29
	v_add_f16_e32 v3, v3, v23
	v_add_f16_e32 v14, v14, v24
	v_fmac_f16_e32 v13, v8, v4
	v_mul_f16_e32 v4, v68, v4
	v_mul_f16_e32 v26, v67, v5
	v_fmac_f16_e32 v15, v9, v5
	v_add_f16_e32 v3, v3, v12
	v_add_f16_e32 v5, v14, v25
	v_lshrrev_b32_e32 v30, 16, v6
	v_lshrrev_b32_e32 v31, 16, v7
	v_fma_f16 v4, v8, v28, -v4
	v_add_f16_e32 v3, v3, v1
	v_add_f16_e32 v5, v5, v0
	v_fma_f16 v8, v9, v29, -v26
	v_mul_f16_e32 v9, v66, v30
	v_mul_f16_e32 v14, v66, v6
	;; [unrolled: 1-line block ×3, first 2 shown]
	v_add_f16_e32 v3, v3, v4
	v_add_f16_e32 v5, v5, v13
	v_lshrrev_b32_e32 v32, 16, v17
	v_fmac_f16_e32 v9, v10, v6
	v_fma_f16 v6, v10, v30, -v14
	v_fmac_f16_e32 v26, v11, v7
	v_mul_f16_e32 v7, v65, v7
	v_add_f16_e32 v3, v3, v8
	v_add_f16_e32 v5, v5, v15
	v_lshrrev_b32_e32 v33, 16, v18
	v_mul_f16_e32 v10, v64, v32
	v_mul_f16_e32 v14, v64, v17
	v_fma_f16 v7, v11, v31, -v7
	v_add_f16_e32 v3, v3, v6
	v_add_f16_e32 v5, v5, v9
	v_fmac_f16_e32 v10, v21, v17
	v_fma_f16 v11, v21, v32, -v14
	v_mul_f16_e32 v14, v63, v33
	v_mul_f16_e32 v17, v63, v18
	v_add_f16_e32 v3, v3, v7
	v_add_f16_e32 v5, v5, v26
	v_sub_f16_e32 v43, v23, v11
	v_fmac_f16_e32 v14, v22, v18
	v_fma_f16 v17, v22, v33, -v17
	v_add_f16_e32 v3, v3, v11
	v_add_f16_e32 v5, v5, v10
	v_add_f16_e32 v11, v23, v11
	v_add_f16_e32 v21, v34, v14
	v_sub_f16_e32 v18, v20, v17
	v_add_f16_e32 v3, v3, v17
	v_add_f16_e32 v5, v5, v14
	;; [unrolled: 1-line block ×3, first 2 shown]
	v_sub_f16_e32 v14, v34, v14
	v_mul_f16_e32 v20, 0xb853, v18
	v_lshlrev_b32_e32 v3, 16, v3
	v_and_b32_e32 v5, 0xffff, v5
	v_mul_f16_e32 v22, 0x3abb, v17
	v_mul_f16_e32 v30, 0x36a6, v17
	;; [unrolled: 1-line block ×4, first 2 shown]
	v_or_b32_e32 v3, v3, v5
	v_mul_f16_e32 v5, 0xbb47, v18
	v_mul_f16_e32 v36, 0xba0c, v18
	;; [unrolled: 1-line block ×5, first 2 shown]
	v_fmamk_f16 v27, v21, 0x3abb, v20
	v_fmamk_f16 v28, v14, 0x3853, v22
	v_fma_f16 v20, v21, 0x3abb, -v20
	v_fmac_f16_e32 v22, 0xb853, v14
	v_fmamk_f16 v29, v21, 0x36a6, v5
	v_fmamk_f16 v32, v14, 0x3b47, v30
	v_fma_f16 v5, v21, 0x36a6, -v5
	v_fmac_f16_e32 v30, 0xbb47, v14
	;; [unrolled: 4-line block ×4, first 2 shown]
	v_fmamk_f16 v40, v21, 0xbbad, v18
	v_fmamk_f16 v45, v14, 0x3482, v17
	v_fma_f16 v18, v21, 0xbbad, -v18
	v_add_f16_e32 v21, v24, v10
	v_mul_f16_e32 v23, 0xbb47, v43
	v_fmac_f16_e32 v17, 0xb482, v14
	v_sub_f16_e32 v10, v24, v10
	v_mul_f16_e32 v14, 0x36a6, v11
	v_add_f16_e32 v27, v27, v19
	v_add_f16_e32 v28, v28, v2
	;; [unrolled: 1-line block ×18, first 2 shown]
	v_fmamk_f16 v45, v21, 0x36a6, v23
	v_add_f16_e32 v18, v18, v19
	v_add_f16_e32 v2, v17, v2
	v_fmamk_f16 v17, v10, 0x3b47, v14
	v_mul_f16_e32 v19, 0xba0c, v43
	v_add_f16_e32 v27, v45, v27
	v_fma_f16 v23, v21, 0x36a6, -v23
	v_fmac_f16_e32 v14, 0xbb47, v10
	v_add_f16_e32 v17, v17, v28
	v_fmamk_f16 v28, v21, 0xb93d, v19
	v_mul_f16_e32 v45, 0xb93d, v11
	v_add_f16_e32 v20, v23, v20
	v_add_f16_e32 v14, v14, v22
	v_mul_f16_e32 v22, 0x3482, v43
	v_add_f16_e32 v23, v28, v29
	v_fmamk_f16 v28, v10, 0x3a0c, v45
	v_fma_f16 v19, v21, 0xb93d, -v19
	v_fmac_f16_e32 v45, 0xba0c, v10
	v_mul_f16_e32 v46, 0xbbad, v11
	v_fmamk_f16 v29, v21, 0xbbad, v22
	v_add_f16_e32 v28, v28, v32
	v_add_f16_e32 v5, v19, v5
	;; [unrolled: 1-line block ×3, first 2 shown]
	v_fmamk_f16 v30, v10, 0xb482, v46
	v_mul_f16_e32 v32, 0x3beb, v43
	v_add_f16_e32 v29, v29, v34
	v_fma_f16 v22, v21, 0xbbad, -v22
	v_mul_f16_e32 v34, 0xb08e, v11
	v_add_f16_e32 v30, v30, v35
	v_fmamk_f16 v35, v21, 0xb08e, v32
	v_mul_f16_e32 v43, 0x3853, v43
	v_fma_f16 v32, v21, 0xb08e, -v32
	v_add_f16_e32 v22, v22, v31
	v_fmamk_f16 v31, v10, 0xbbeb, v34
	v_add_f16_e32 v35, v35, v38
	v_fmac_f16_e32 v34, 0x3beb, v10
	v_fmamk_f16 v38, v21, 0x3abb, v43
	v_add_f16_e32 v32, v32, v36
	v_sub_f16_e32 v36, v12, v7
	v_add_f16_e32 v31, v31, v39
	v_mul_f16_e32 v11, 0x3abb, v11
	v_add_f16_e32 v34, v34, v37
	v_add_f16_e32 v37, v38, v40
	;; [unrolled: 1-line block ×3, first 2 shown]
	v_mul_f16_e32 v40, 0xbbeb, v36
	v_add_f16_e32 v7, v12, v7
	v_fmac_f16_e32 v46, 0x3482, v10
	v_fmamk_f16 v38, v10, 0xb853, v11
	v_fma_f16 v12, v21, 0x3abb, -v43
	v_fmac_f16_e32 v11, 0x3853, v10
	v_sub_f16_e32 v10, v25, v26
	v_fmamk_f16 v21, v39, 0xb08e, v40
	v_mul_f16_e32 v25, 0xb08e, v7
	v_add_f16_e32 v12, v12, v18
	v_add_f16_e32 v2, v11, v2
	v_fma_f16 v26, v39, 0xb08e, -v40
	v_add_f16_e32 v11, v21, v27
	v_fmamk_f16 v18, v10, 0x3beb, v25
	v_mul_f16_e32 v21, 0x3482, v36
	v_fmac_f16_e32 v25, 0xbbeb, v10
	v_mul_f16_e32 v27, 0xbbad, v7
	v_add_f16_e32 v20, v26, v20
	v_add_f16_e32 v17, v18, v17
	v_fmamk_f16 v18, v39, 0xbbad, v21
	v_add_f16_e32 v14, v25, v14
	v_fmamk_f16 v25, v10, 0xb482, v27
	v_mul_f16_e32 v26, 0x3b47, v36
	v_fma_f16 v21, v39, 0xbbad, -v21
	v_add_f16_e32 v18, v18, v23
	v_fmac_f16_e32 v27, 0x3482, v10
	v_add_f16_e32 v23, v25, v28
	v_fmamk_f16 v25, v39, 0x36a6, v26
	v_mul_f16_e32 v28, 0x36a6, v7
	v_add_f16_e32 v5, v21, v5
	v_mul_f16_e32 v21, 0xb853, v36
	v_add_f16_e32 v33, v46, v33
	v_add_f16_e32 v24, v38, v24
	;; [unrolled: 1-line block ×4, first 2 shown]
	v_fmamk_f16 v27, v10, 0xbb47, v28
	v_fma_f16 v26, v39, 0x36a6, -v26
	v_fmac_f16_e32 v28, 0x3b47, v10
	v_fmamk_f16 v29, v39, 0x3abb, v21
	v_mul_f16_e32 v38, 0x3abb, v7
	v_mul_f16_e32 v7, 0xb93d, v7
	v_add_f16_e32 v22, v26, v22
	v_add_f16_e32 v26, v28, v33
	;; [unrolled: 1-line block ×3, first 2 shown]
	v_fmamk_f16 v29, v10, 0x3853, v38
	v_fma_f16 v21, v39, 0x3abb, -v21
	v_fmac_f16_e32 v38, 0xb853, v10
	v_add_f16_e32 v27, v27, v30
	v_mul_f16_e32 v30, 0xba0c, v36
	v_fmamk_f16 v33, v10, 0x3a0c, v7
	v_add_f16_e32 v21, v21, v32
	v_add_f16_e32 v32, v38, v34
	v_sub_f16_e32 v34, v1, v6
	v_add_f16_e32 v1, v1, v6
	v_add_f16_e32 v29, v29, v31
	v_fmamk_f16 v31, v39, 0xb93d, v30
	v_add_f16_e32 v24, v33, v24
	v_add_f16_e32 v33, v0, v9
	v_mul_f16_e32 v6, 0xba0c, v34
	v_fma_f16 v30, v39, 0xb93d, -v30
	v_fmac_f16_e32 v7, 0xba0c, v10
	v_sub_f16_e32 v0, v0, v9
	v_mul_f16_e32 v9, 0xb93d, v1
	v_fmamk_f16 v10, v33, 0xb93d, v6
	v_add_f16_e32 v12, v30, v12
	v_add_f16_e32 v2, v7, v2
	v_mul_f16_e32 v7, 0x3beb, v34
	v_fmamk_f16 v30, v0, 0x3a0c, v9
	v_add_f16_e32 v10, v10, v11
	v_fma_f16 v6, v33, 0xb93d, -v6
	v_fmac_f16_e32 v9, 0xba0c, v0
	v_fmamk_f16 v11, v33, 0xb08e, v7
	v_add_f16_e32 v17, v30, v17
	v_mul_f16_e32 v30, 0xb08e, v1
	v_add_f16_e32 v6, v6, v20
	v_add_f16_e32 v9, v9, v14
	;; [unrolled: 1-line block ×3, first 2 shown]
	v_mul_f16_e32 v14, 0xb853, v34
	v_fmamk_f16 v18, v0, 0xbbeb, v30
	v_fma_f16 v7, v33, 0xb08e, -v7
	v_fmac_f16_e32 v30, 0x3beb, v0
	v_mul_f16_e32 v20, 0x3abb, v1
	v_fmamk_f16 v35, v33, 0x3abb, v14
	v_add_f16_e32 v18, v18, v23
	v_add_f16_e32 v5, v7, v5
	;; [unrolled: 1-line block ×3, first 2 shown]
	v_fmamk_f16 v19, v0, 0x3853, v20
	v_add_f16_e32 v23, v35, v25
	v_mul_f16_e32 v25, 0xb482, v34
	v_fma_f16 v14, v33, 0x3abb, -v14
	v_fmac_f16_e32 v20, 0xb853, v0
	v_add_f16_e32 v19, v19, v27
	v_mul_f16_e32 v27, 0xbbad, v1
	v_fmamk_f16 v30, v33, 0xbbad, v25
	v_add_f16_e32 v14, v14, v22
	v_add_f16_e32 v20, v20, v26
	v_mul_f16_e32 v22, 0x3b47, v34
	v_fmamk_f16 v26, v0, 0x3482, v27
	v_add_f16_e32 v31, v31, v37
	v_add_f16_e32 v28, v30, v28
	v_fma_f16 v25, v33, 0xbbad, -v25
	v_fmac_f16_e32 v27, 0xb482, v0
	v_fmamk_f16 v30, v33, 0x36a6, v22
	v_add_f16_e32 v26, v26, v29
	v_mul_f16_e32 v1, 0x36a6, v1
	v_sub_f16_e32 v29, v4, v8
	v_add_f16_e32 v4, v4, v8
	v_add_f16_e32 v21, v25, v21
	;; [unrolled: 1-line block ×4, first 2 shown]
	v_fmamk_f16 v30, v0, 0xbb47, v1
	v_fma_f16 v22, v33, 0x36a6, -v22
	v_add_f16_e32 v8, v13, v15
	v_mul_f16_e32 v31, 0xb482, v29
	v_fmac_f16_e32 v1, 0x3b47, v0
	v_sub_f16_e32 v0, v13, v15
	v_mul_f16_e32 v13, 0xbbad, v4
	v_add_f16_e32 v15, v30, v24
	v_fmamk_f16 v24, v8, 0xbbad, v31
	v_add_f16_e32 v12, v22, v12
	v_add_f16_e32 v1, v1, v2
	v_fmamk_f16 v2, v0, 0x3482, v13
	v_mul_f16_e32 v22, 0x3853, v29
	v_fmac_f16_e32 v13, 0xb482, v0
	v_add_f16_e32 v10, v24, v10
	v_fma_f16 v24, v8, 0xbbad, -v31
	v_add_f16_e32 v2, v2, v17
	v_fmamk_f16 v17, v8, 0x3abb, v22
	v_mul_f16_e32 v30, 0x3abb, v4
	v_add_f16_e32 v9, v13, v9
	v_mul_f16_e32 v13, 0xba0c, v29
	v_add_f16_e32 v6, v24, v6
	v_add_f16_e32 v11, v17, v11
	v_fmamk_f16 v17, v0, 0xb853, v30
	v_fma_f16 v22, v8, 0x3abb, -v22
	v_fmamk_f16 v24, v8, 0xb93d, v13
	v_mul_f16_e32 v31, 0xb93d, v4
	v_fma_f16 v13, v8, 0xb93d, -v13
	v_add_f16_e32 v17, v17, v18
	v_add_f16_e32 v5, v22, v5
	;; [unrolled: 1-line block ×3, first 2 shown]
	v_fmamk_f16 v22, v0, 0x3a0c, v31
	v_mul_f16_e32 v23, 0x3b47, v29
	v_fmac_f16_e32 v31, 0xba0c, v0
	v_mul_f16_e32 v24, 0x36a6, v4
	v_add_f16_e32 v13, v13, v14
	v_add_f16_e32 v19, v22, v19
	v_fmamk_f16 v22, v8, 0x36a6, v23
	v_add_f16_e32 v14, v31, v20
	v_fmamk_f16 v20, v0, 0xbb47, v24
	v_fma_f16 v23, v8, 0x36a6, -v23
	v_mul_f16_e32 v4, 0xb08e, v4
	v_add_f16_e32 v22, v22, v28
	v_mul_f16_e32 v28, 0xbbeb, v29
	v_add_f16_e32 v20, v20, v26
	v_add_f16_e32 v21, v23, v21
	v_fmamk_f16 v26, v0, 0x3beb, v4
	v_fmac_f16_e32 v4, 0xbbeb, v0
	v_fmamk_f16 v23, v8, 0xb08e, v28
	v_fma_f16 v8, v8, 0xb08e, -v28
	v_fmac_f16_e32 v24, 0x3b47, v0
	v_fmac_f16_e32 v30, 0x3853, v0
	v_add_f16_e32 v15, v26, v15
	v_add_f16_e32 v23, v23, v27
	;; [unrolled: 1-line block ×6, first 2 shown]
	ds_store_b32 v44, v3
	v_pack_b32_f16 v10, v10, v2
	v_pack_b32_f16 v11, v11, v17
	v_add_nc_u32_e32 v4, 0x400, v44
	v_add_nc_u32_e32 v3, 0x800, v44
	;; [unrolled: 1-line block ×3, first 2 shown]
	v_pack_b32_f16 v12, v18, v19
	v_pack_b32_f16 v17, v22, v20
	;; [unrolled: 1-line block ×4, first 2 shown]
	v_add_nc_u32_e32 v8, 0x600, v44
	v_pack_b32_f16 v0, v21, v0
	v_pack_b32_f16 v13, v13, v14
	;; [unrolled: 1-line block ×4, first 2 shown]
	ds_store_2addr_b32 v44, v10, v11 offset0:91 offset1:182
	ds_store_2addr_b32 v4, v12, v17 offset0:17 offset1:108
	;; [unrolled: 1-line block ×5, first 2 shown]
	global_wb scope:SCOPE_SE
	s_wait_dscnt 0x0
	s_barrier_signal -1
	s_barrier_wait -1
	global_inv scope:SCOPE_SE
	s_and_b32 exec_lo, exec_lo, vcc_lo
	s_cbranch_execz .LBB0_23
; %bb.22:
	s_clause 0x6
	global_load_b32 v0, v41, s[20:21]
	global_load_b32 v1, v41, s[20:21] offset:308
	global_load_b32 v8, v41, s[20:21] offset:616
	;; [unrolled: 1-line block ×6, first 2 shown]
	v_mad_co_u64_u32 v[11:12], null, s6, v16, 0
	v_mad_co_u64_u32 v[13:14], null, s4, v42, 0
	ds_load_b32 v23, v44
	v_add_nc_u32_e32 v5, 0x200, v44
	ds_load_2addr_b32 v[17:18], v44 offset0:77 offset1:154
	ds_load_2addr_b32 v[19:20], v4 offset0:129 offset1:206
	s_mov_b32 s24, 0x27a3ee9c
	s_mov_b32 s25, 0x3f505e1d
	v_mov_b32_e32 v6, v14
	ds_load_2addr_b32 v[21:22], v5 offset0:103 offset1:180
	v_mov_b32_e32 v5, v12
	s_mul_u64 s[22:23], s[4:5], 0x134
	global_load_b32 v4, v41, s[20:21] offset:2156
	v_mad_co_u64_u32 v[14:15], null, s7, v16, v[5:6]
	v_mad_co_u64_u32 v[15:16], null, s5, v42, v[6:7]
	s_clause 0x2
	global_load_b32 v5, v41, s[20:21] offset:2464
	global_load_b32 v6, v41, s[20:21] offset:2772
	;; [unrolled: 1-line block ×3, first 2 shown]
	s_wait_dscnt 0x3
	v_lshrrev_b32_e32 v16, 16, v23
	v_mov_b32_e32 v12, v14
	s_wait_dscnt 0x2
	v_lshrrev_b32_e32 v24, 16, v17
	v_mov_b32_e32 v14, v15
	v_lshrrev_b32_e32 v26, 16, v18
	s_wait_dscnt 0x1
	v_lshrrev_b32_e32 v27, 16, v19
	v_lshlrev_b64_e32 v[11:12], 2, v[11:12]
	s_wait_dscnt 0x0
	v_lshrrev_b32_e32 v28, 16, v21
	v_lshrrev_b32_e32 v29, 16, v22
	;; [unrolled: 1-line block ×3, first 2 shown]
	s_wait_loadcnt 0xa
	v_lshrrev_b32_e32 v15, 16, v0
	s_wait_loadcnt 0x9
	v_lshrrev_b32_e32 v30, 16, v1
	;; [unrolled: 2-line block ×5, first 2 shown]
	v_mul_f16_e32 v31, v16, v15
	v_mul_f16_e32 v15, v23, v15
	s_wait_loadcnt 0x5
	v_lshrrev_b32_e32 v35, 16, v25
	v_mul_f16_e32 v36, v26, v32
	v_mul_f16_e32 v32, v18, v32
	v_fmac_f16_e32 v31, v23, v0
	v_fma_f16 v0, v0, v16, -v15
	v_mul_f16_e32 v23, v24, v30
	v_mul_f16_e32 v30, v17, v30
	;; [unrolled: 1-line block ×3, first 2 shown]
	v_cvt_f32_f16_e32 v31, v31
	v_cvt_f32_f16_e32 v0, v0
	v_fmac_f16_e32 v23, v17, v1
	v_fma_f16 v17, v1, v24, -v30
	v_mul_f16_e32 v30, v22, v34
	v_cvt_f64_f32_e32 v[15:16], v31
	v_mul_f16_e32 v31, v21, v33
	v_mul_f16_e32 v33, v29, v34
	v_cvt_f64_f32_e32 v[0:1], v0
	v_fmac_f16_e32 v36, v18, v8
	v_fma_f16 v8, v8, v26, -v32
	v_mul_f16_e32 v32, v19, v35
	v_fmac_f16_e32 v33, v22, v10
	v_fma_f16 v10, v10, v29, -v30
	v_cvt_f32_f16_e32 v23, v23
	v_mul_f16_e32 v34, v27, v35
	v_fma_f16 v29, v25, v27, -v32
	v_cvt_f32_f16_e32 v24, v17
	v_cvt_f32_f16_e32 v26, v36
	v_cvt_f64_f32_e32 v[17:18], v23
	v_fmac_f16_e32 v37, v21, v9
	v_cvt_f32_f16_e32 v35, v29
	v_cvt_f64_f32_e32 v[23:24], v24
	v_cvt_f32_f16_e32 v21, v8
	v_fma_f16 v28, v9, v28, -v31
	v_cvt_f64_f32_e32 v[8:9], v26
	v_cvt_f64_f32_e32 v[35:36], v35
	v_cvt_f32_f16_e32 v26, v37
	v_cvt_f64_f32_e32 v[21:22], v21
	v_fmac_f16_e32 v34, v19, v25
	v_cvt_f32_f16_e32 v19, v28
	v_cvt_f32_f16_e32 v10, v10
	v_cvt_f64_f32_e32 v[25:26], v26
	s_wait_loadcnt 0x4
	v_lshrrev_b32_e32 v38, 16, v39
	v_cvt_f32_f16_e32 v30, v33
	v_cvt_f64_f32_e32 v[27:28], v19
	v_cvt_f32_f16_e32 v19, v34
	v_cvt_f64_f32_e32 v[31:32], v10
	s_delay_alu instid0(VALU_DEP_4) | instskip(NEXT) | instid1(VALU_DEP_3)
	v_cvt_f64_f32_e32 v[29:30], v30
	v_cvt_f64_f32_e32 v[33:34], v19
	v_add_co_u32 v19, vcc_lo, s8, v11
	v_mul_f64_e32 v[15:16], s[24:25], v[15:16]
	s_wait_alu 0xfffd
	v_add_co_ci_u32_e32 v37, vcc_lo, s9, v12, vcc_lo
	v_mul_f64_e32 v[10:11], s[24:25], v[0:1]
	v_mul_f16_e32 v0, v40, v38
	v_mul_f16_e32 v1, v20, v38
	s_delay_alu instid0(VALU_DEP_2) | instskip(NEXT) | instid1(VALU_DEP_2)
	v_fmac_f16_e32 v0, v20, v39
	v_fma_f16 v1, v39, v40, -v1
	v_mul_f64_e32 v[17:18], s[24:25], v[17:18]
	s_delay_alu instid0(VALU_DEP_3) | instskip(NEXT) | instid1(VALU_DEP_3)
	v_cvt_f32_f16_e32 v0, v0
	v_cvt_f32_f16_e32 v1, v1
	v_mul_f64_e32 v[23:24], s[24:25], v[23:24]
	s_delay_alu instid0(VALU_DEP_3) | instskip(NEXT) | instid1(VALU_DEP_3)
	v_cvt_f64_f32_e32 v[42:43], v0
	v_cvt_f64_f32_e32 v[45:46], v1
	v_mul_f64_e32 v[0:1], s[24:25], v[35:36]
	v_mul_f64_e32 v[8:9], s[24:25], v[8:9]
	;; [unrolled: 1-line block ×7, first 2 shown]
	v_bfe_u32 v35, v16, 20, 11
	v_and_or_b32 v10, 0x1ff, v11, v10
	v_lshrrev_b32_e32 v36, 8, v11
	s_delay_alu instid0(VALU_DEP_3) | instskip(SKIP_4) | instid1(VALU_DEP_3)
	v_sub_nc_u32_e32 v66, 0x3f1, v35
	v_add_nc_u32_e32 v35, 0xfffffc10, v35
	v_lshlrev_b64_e32 v[13:14], 2, v[13:14]
	v_bfe_u32 v47, v11, 20, 11
	v_lshrrev_b32_e32 v11, 16, v11
	v_add_co_u32 v12, vcc_lo, v19, v13
	v_mul_f64_e32 v[19:20], s[24:25], v[21:22]
	s_wait_alu 0xfffd
	v_add_co_ci_u32_e32 v13, vcc_lo, v37, v14, vcc_lo
	s_delay_alu instid0(VALU_DEP_3) | instskip(SKIP_2) | instid1(VALU_DEP_3)
	v_add_co_u32 v37, vcc_lo, v12, s22
	v_and_or_b32 v14, 0x1ff, v16, v15
	s_wait_alu 0xfffd
	v_add_co_ci_u32_e32 v38, vcc_lo, s23, v13, vcc_lo
	s_delay_alu instid0(VALU_DEP_3) | instskip(SKIP_2) | instid1(VALU_DEP_3)
	v_add_co_u32 v21, vcc_lo, v37, s22
	v_and_or_b32 v17, 0x1ff, v18, v17
	;; [unrolled: 5-line block ×3, first 2 shown]
	s_wait_alu 0xfffd
	v_add_co_ci_u32_e32 v40, vcc_lo, s23, v22, vcc_lo
	v_cmp_ne_u32_e32 vcc_lo, 0, v14
	v_and_or_b32 v8, 0x1ff, v9, v8
	v_and_or_b32 v25, 0x1ff, v26, v25
	;; [unrolled: 1-line block ×4, first 2 shown]
	s_wait_alu 0xfffd
	v_cndmask_b32_e64 v14, 0, 1, vcc_lo
	v_cmp_ne_u32_e32 vcc_lo, 0, v10
	v_and_or_b32 v31, 0x1ff, v32, v31
	v_lshrrev_b32_e32 v15, 8, v16
	v_and_or_b32 v33, 0x1ff, v34, v33
	v_lshrrev_b32_e32 v48, 8, v18
	s_wait_alu 0xfffd
	v_cndmask_b32_e64 v10, 0, 1, vcc_lo
	v_cmp_ne_u32_e32 vcc_lo, 0, v17
	v_and_or_b32 v14, 0xffe, v15, v14
	v_bfe_u32 v49, v18, 20, 11
	v_bfe_u32 v51, v24, 20, 11
	v_sub_nc_u32_e32 v67, 0x3f1, v47
	s_wait_alu 0xfffd
	v_cndmask_b32_e64 v17, 0, 1, vcc_lo
	v_cmp_ne_u32_e32 vcc_lo, 0, v23
	v_and_or_b32 v10, 0xffe, v36, v10
	v_and_or_b32 v19, 0x1ff, v20, v19
	v_lshrrev_b32_e32 v50, 8, v24
	v_bfe_u32 v53, v9, 20, 11
	s_wait_alu 0xfffd
	v_cndmask_b32_e64 v23, 0, 1, vcc_lo
	v_cmp_ne_u32_e32 vcc_lo, 0, v8
	v_bfe_u32 v55, v20, 20, 11
	v_add_nc_u32_e32 v47, 0xfffffc10, v47
	v_sub_nc_u32_e32 v68, 0x3f1, v49
	v_sub_nc_u32_e32 v69, 0x3f1, v51
	s_wait_alu 0xfffd
	v_cndmask_b32_e64 v8, 0, 1, vcc_lo
	v_cmp_ne_u32_e32 vcc_lo, 0, v19
	v_med3_i32 v15, v66, 0, 13
	v_med3_i32 v36, v67, 0, 13
	v_and_or_b32 v17, 0xffe, v48, v17
	v_or_b32_e32 v66, 0x1000, v14
	s_wait_alu 0xfffd
	v_cndmask_b32_e64 v19, 0, 1, vcc_lo
	v_cmp_ne_u32_e32 vcc_lo, 0, v25
	v_lshl_or_b32 v67, v35, 12, v14
	v_lshrrev_b32_e32 v52, 8, v9
	v_lshrrev_b32_e32 v54, 8, v20
	v_bfe_u32 v57, v26, 20, 11
	s_wait_alu 0xfffd
	v_cndmask_b32_e64 v25, 0, 1, vcc_lo
	v_cmp_ne_u32_e32 vcc_lo, 0, v27
	v_bfe_u32 v59, v28, 20, 11
	v_add_nc_u32_e32 v49, 0xfffffc10, v49
	v_sub_nc_u32_e32 v70, 0x3f1, v53
	v_sub_nc_u32_e32 v71, 0x3f1, v55
	s_wait_alu 0xfffd
	v_cndmask_b32_e64 v27, 0, 1, vcc_lo
	v_cmp_ne_u32_e32 vcc_lo, 0, v29
	v_med3_i32 v48, v68, 0, 13
	v_and_or_b32 v23, 0xffe, v50, v23
	v_med3_i32 v50, v69, 0, 13
	v_or_b32_e32 v68, 0x1000, v10
	s_wait_alu 0xfffd
	v_cndmask_b32_e64 v29, 0, 1, vcc_lo
	v_cmp_ne_u32_e32 vcc_lo, 0, v31
	v_lshl_or_b32 v69, v47, 12, v10
	v_lshrrev_b32_e32 v56, 8, v26
	v_lshrrev_b32_e32 v58, 8, v28
	v_bfe_u32 v61, v30, 20, 11
	s_wait_alu 0xfffd
	v_cndmask_b32_e64 v31, 0, 1, vcc_lo
	v_cmp_ne_u32_e32 vcc_lo, 0, v33
	v_bfe_u32 v63, v32, 20, 11
	v_add_nc_u32_e32 v51, 0xfffffc10, v51
	v_sub_nc_u32_e32 v72, 0x3f1, v57
	v_sub_nc_u32_e32 v73, 0x3f1, v59
	s_wait_alu 0xfffd
	v_cndmask_b32_e64 v33, 0, 1, vcc_lo
	v_cmp_ne_u32_e32 vcc_lo, 0, v14
	v_and_or_b32 v8, 0xffe, v52, v8
	v_med3_i32 v52, v70, 0, 13
	v_and_or_b32 v19, 0xffe, v54, v19
	v_med3_i32 v54, v71, 0, 13
	s_wait_alu 0xfffd
	v_cndmask_b32_e64 v14, 0, 1, vcc_lo
	v_cmp_ne_u32_e32 vcc_lo, 0, v10
	v_or_b32_e32 v70, 0x1000, v17
	v_lshl_or_b32 v71, v49, 12, v17
	v_lshrrev_b32_e32 v60, 8, v30
	v_lshrrev_b32_e32 v62, 8, v32
	s_wait_alu 0xfffd
	v_cndmask_b32_e64 v10, 0, 1, vcc_lo
	v_cmp_ne_u32_e32 vcc_lo, 0, v17
	v_bfe_u32 v65, v34, 20, 11
	v_add_nc_u32_e32 v53, 0xfffffc10, v53
	v_sub_nc_u32_e32 v74, 0x3f1, v61
	v_sub_nc_u32_e32 v75, 0x3f1, v63
	s_wait_alu 0xfffd
	v_cndmask_b32_e64 v17, 0, 1, vcc_lo
	v_cmp_ne_u32_e32 vcc_lo, 0, v23
	v_and_or_b32 v25, 0xffe, v56, v25
	v_med3_i32 v56, v72, 0, 13
	v_and_or_b32 v27, 0xffe, v58, v27
	v_med3_i32 v58, v73, 0, 13
	v_or_b32_e32 v72, 0x1000, v23
	v_lshl_or_b32 v73, v51, 12, v23
	s_wait_alu 0xfffd
	v_cndmask_b32_e64 v23, 0, 1, vcc_lo
	v_cmp_ne_u32_e32 vcc_lo, 0, v8
	v_lshrrev_b32_e32 v64, 8, v34
	v_add_nc_u32_e32 v55, 0xfffffc10, v55
	v_sub_nc_u32_e32 v76, 0x3f1, v65
	v_and_or_b32 v29, 0xffe, v60, v29
	v_med3_i32 v60, v74, 0, 13
	v_and_or_b32 v31, 0xffe, v62, v31
	v_med3_i32 v62, v75, 0, 13
	v_or_b32_e32 v74, 0x1000, v8
	v_lshl_or_b32 v75, v53, 12, v8
	s_wait_alu 0xfffd
	v_cndmask_b32_e64 v8, 0, 1, vcc_lo
	v_cmp_ne_u32_e32 vcc_lo, 0, v19
	v_add_nc_u32_e32 v57, 0xfffffc10, v57
	v_and_or_b32 v33, 0xffe, v64, v33
	v_med3_i32 v64, v76, 0, 13
	v_or_b32_e32 v76, 0x1000, v19
	v_lshl_or_b32 v77, v55, 12, v19
	s_wait_alu 0xfffd
	v_cndmask_b32_e64 v19, 0, 1, vcc_lo
	v_cmp_ne_u32_e32 vcc_lo, 0, v25
	v_add_nc_u32_e32 v59, 0xfffffc10, v59
	v_or_b32_e32 v78, 0x1000, v25
	v_lshl_or_b32 v79, v57, 12, v25
	v_add_nc_u32_e32 v61, 0xfffffc10, v61
	s_wait_alu 0xfffd
	v_cndmask_b32_e64 v25, 0, 1, vcc_lo
	v_cmp_ne_u32_e32 vcc_lo, 0, v27
	v_or_b32_e32 v80, 0x1000, v27
	v_lshl_or_b32 v81, v59, 12, v27
	v_lshrrev_b32_e32 v88, v15, v66
	v_add_nc_u32_e32 v63, 0xfffffc10, v63
	s_wait_alu 0xfffd
	v_cndmask_b32_e64 v27, 0, 1, vcc_lo
	v_cmp_ne_u32_e32 vcc_lo, 0, v29
	v_or_b32_e32 v82, 0x1000, v29
	v_lshl_or_b32 v83, v61, 12, v29
	v_lshlrev_b32_e32 v15, v15, v88
	v_or_b32_e32 v84, 0x1000, v31
	s_wait_alu 0xfffd
	v_cndmask_b32_e64 v29, 0, 1, vcc_lo
	v_cmp_ne_u32_e32 vcc_lo, 0, v31
	v_lshl_or_b32 v85, v63, 12, v31
	v_lshrrev_b32_e32 v89, v36, v68
	v_lshrrev_b32_e32 v90, v48, v70
	;; [unrolled: 1-line block ×3, first 2 shown]
	s_wait_alu 0xfffd
	v_cndmask_b32_e64 v31, 0, 1, vcc_lo
	v_cmp_ne_u32_e32 vcc_lo, v15, v66
	v_lshl_or_b32 v17, v17, 9, 0x7c00
	v_lshlrev_b32_e32 v48, v48, v90
	v_lshrrev_b32_e32 v92, v52, v74
	v_lshlrev_b32_e32 v50, v50, v91
	s_wait_alu 0xfffd
	v_cndmask_b32_e64 v15, 0, 1, vcc_lo
	v_lshl_or_b32 v23, v23, 9, 0x7c00
	v_lshrrev_b32_e32 v93, v54, v76
	v_lshlrev_b32_e32 v52, v52, v92
	v_lshrrev_b32_e32 v94, v56, v78
	v_or_b32_e32 v15, v88, v15
	v_lshlrev_b32_e32 v36, v36, v89
	v_lshlrev_b32_e32 v54, v54, v93
	v_lshl_or_b32 v19, v19, 9, 0x7c00
	v_lshrrev_b32_e32 v95, v58, v80
	v_lshlrev_b32_e32 v56, v56, v94
	v_cmp_ne_u32_e32 vcc_lo, v36, v68
	v_lshl_or_b32 v25, v25, 9, 0x7c00
	v_lshrrev_b32_e32 v96, v60, v82
	v_lshlrev_b32_e32 v58, v58, v95
	v_or_b32_e32 v86, 0x1000, v33
	s_wait_alu 0xfffd
	v_cndmask_b32_e64 v36, 0, 1, vcc_lo
	v_cmp_ne_u32_e32 vcc_lo, v48, v70
	v_lshl_or_b32 v27, v27, 9, 0x7c00
	v_lshrrev_b32_e32 v97, v62, v84
	v_lshlrev_b32_e32 v60, v60, v96
	v_lshrrev_b32_e32 v98, v64, v86
	s_wait_alu 0xfffd
	v_cndmask_b32_e64 v48, 0, 1, vcc_lo
	v_cmp_ne_u32_e32 vcc_lo, v50, v72
	v_lshlrev_b32_e32 v62, v62, v97
	v_or_b32_e32 v36, v89, v36
	v_lshlrev_b32_e32 v64, v64, v98
	v_or_b32_e32 v48, v90, v48
	s_wait_alu 0xfffd
	v_cndmask_b32_e64 v50, 0, 1, vcc_lo
	v_cmp_ne_u32_e32 vcc_lo, v52, v74
	v_lshl_or_b32 v29, v29, 9, 0x7c00
	v_lshl_or_b32 v14, v14, 9, 0x7c00
	;; [unrolled: 1-line block ×3, first 2 shown]
	v_or_b32_e32 v50, v91, v50
	s_wait_alu 0xfffd
	v_cndmask_b32_e64 v52, 0, 1, vcc_lo
	v_cmp_ne_u32_e32 vcc_lo, v54, v76
	v_lshl_or_b32 v8, v8, 9, 0x7c00
	v_lshrrev_b32_e32 v16, 16, v16
	v_lshrrev_b32_e32 v18, 16, v18
	v_or_b32_e32 v52, v92, v52
	s_wait_alu 0xfffd
	v_cndmask_b32_e64 v54, 0, 1, vcc_lo
	v_cmp_ne_u32_e32 vcc_lo, v56, v78
	v_lshrrev_b32_e32 v9, 16, v9
	v_lshrrev_b32_e32 v26, 16, v26
	v_lshrrev_b32_e32 v24, 16, v24
	v_or_b32_e32 v54, v93, v54
	s_wait_alu 0xfffd
	v_cndmask_b32_e64 v56, 0, 1, vcc_lo
	v_cmp_ne_u32_e32 vcc_lo, v58, v80
	v_lshrrev_b32_e32 v20, 16, v20
	v_lshrrev_b32_e32 v28, 16, v28
	v_lshl_or_b32 v31, v31, 9, 0x7c00
	v_or_b32_e32 v56, v94, v56
	s_wait_alu 0xfffd
	v_cndmask_b32_e64 v58, 0, 1, vcc_lo
	v_cmp_ne_u32_e32 vcc_lo, v60, v82
	v_and_or_b32 v0, 0x1ff, v1, v0
	v_lshrrev_b32_e32 v30, 16, v30
	s_delay_alu instid0(VALU_DEP_4) | instskip(SKIP_3) | instid1(VALU_DEP_2)
	v_or_b32_e32 v58, v95, v58
	s_wait_alu 0xfffd
	v_cndmask_b32_e64 v60, 0, 1, vcc_lo
	v_cmp_ne_u32_e32 vcc_lo, v62, v84
	v_or_b32_e32 v60, v96, v60
	s_wait_alu 0xfffd
	v_cndmask_b32_e64 v62, 0, 1, vcc_lo
	v_cmp_ne_u32_e32 vcc_lo, v64, v86
	s_delay_alu instid0(VALU_DEP_2) | instskip(SKIP_3) | instid1(VALU_DEP_2)
	v_or_b32_e32 v62, v97, v62
	s_wait_alu 0xfffd
	v_cndmask_b32_e64 v64, 0, 1, vcc_lo
	v_cmp_gt_i32_e32 vcc_lo, 1, v35
	v_or_b32_e32 v64, v98, v64
	s_wait_alu 0xfffd
	v_cndmask_b32_e32 v15, v67, v15, vcc_lo
	v_cmp_gt_i32_e32 vcc_lo, 1, v47
	s_delay_alu instid0(VALU_DEP_2)
	v_and_b32_e32 v66, 7, v15
	s_wait_alu 0xfffd
	v_cndmask_b32_e32 v36, v69, v36, vcc_lo
	v_cmp_gt_i32_e32 vcc_lo, 1, v49
	v_lshrrev_b32_e32 v15, 2, v15
	v_cmp_eq_u32_e64 s0, 3, v66
	s_delay_alu instid0(VALU_DEP_4)
	v_and_b32_e32 v67, 7, v36
	s_wait_alu 0xfffd
	v_cndmask_b32_e32 v48, v71, v48, vcc_lo
	v_cmp_gt_i32_e32 vcc_lo, 1, v51
	v_lshrrev_b32_e32 v36, 2, v36
	v_cmp_lt_i32_e64 s1, 5, v67
	v_cmp_eq_u32_e64 s2, 3, v67
	s_wait_alu 0xfffd
	v_cndmask_b32_e32 v50, v73, v50, vcc_lo
	v_cmp_gt_i32_e32 vcc_lo, 1, v53
	v_and_b32_e32 v68, 7, v48
	v_lshrrev_b32_e32 v48, 2, v48
	s_wait_alu 0xfffd
	v_cndmask_b32_e32 v52, v75, v52, vcc_lo
	v_cmp_gt_i32_e32 vcc_lo, 1, v55
	v_cmp_lt_i32_e64 s3, 5, v68
	v_cmp_eq_u32_e64 s4, 3, v68
	s_delay_alu instid0(VALU_DEP_4)
	v_and_b32_e32 v70, 7, v52
	s_wait_alu 0xfffd
	v_cndmask_b32_e32 v54, v77, v54, vcc_lo
	v_cmp_gt_i32_e32 vcc_lo, 1, v57
	v_lshrrev_b32_e32 v52, 2, v52
	v_cmp_lt_i32_e64 s7, 5, v70
	v_cmp_eq_u32_e64 s8, 3, v70
	s_wait_alu 0xfffd
	v_cndmask_b32_e32 v56, v79, v56, vcc_lo
	v_cmp_gt_i32_e32 vcc_lo, 1, v59
	s_delay_alu instid0(VALU_DEP_2)
	v_and_b32_e32 v72, 7, v56
	s_wait_alu 0xfffd
	v_cndmask_b32_e32 v58, v81, v58, vcc_lo
	v_cmp_gt_i32_e32 vcc_lo, 1, v61
	v_lshrrev_b32_e32 v56, 2, v56
	v_cmp_lt_i32_e64 s11, 5, v72
	v_cmp_eq_u32_e64 s12, 3, v72
	s_wait_alu 0xfffd
	v_cndmask_b32_e32 v60, v83, v60, vcc_lo
	v_cmp_gt_i32_e32 vcc_lo, 1, v63
	s_delay_alu instid0(VALU_DEP_2)
	v_and_b32_e32 v74, 7, v60
	s_wait_alu 0xfffd
	v_cndmask_b32_e32 v62, v85, v62, vcc_lo
	v_cmp_lt_i32_e32 vcc_lo, 5, v66
	v_lshrrev_b32_e32 v60, 2, v60
	v_cmp_lt_i32_e64 s15, 5, v74
	v_cmp_eq_u32_e64 s16, 3, v74
	s_or_b32 vcc_lo, s0, vcc_lo
	s_wait_alu 0xfffe
	v_add_co_ci_u32_e32 v15, vcc_lo, 0, v15, vcc_lo
	s_or_b32 vcc_lo, s2, s1
	s_wait_alu 0xfffe
	v_add_co_ci_u32_e32 v36, vcc_lo, 0, v36, vcc_lo
	v_and_b32_e32 v69, 7, v50
	s_or_b32 vcc_lo, s4, s3
	v_lshrrev_b32_e32 v50, 2, v50
	s_wait_alu 0xfffe
	v_add_co_ci_u32_e32 v48, vcc_lo, 0, v48, vcc_lo
	v_cmp_lt_i32_e64 s5, 5, v69
	v_cmp_eq_u32_e64 s6, 3, v69
	v_and_b32_e32 v71, 7, v54
	v_lshrrev_b32_e32 v54, 2, v54
	s_delay_alu instid0(VALU_DEP_3) | instskip(NEXT) | instid1(VALU_DEP_2)
	s_or_b32 vcc_lo, s6, s5
	v_cmp_lt_i32_e64 s9, 5, v71
	v_cmp_eq_u32_e64 s10, 3, v71
	s_wait_alu 0xfffe
	v_add_co_ci_u32_e32 v50, vcc_lo, 0, v50, vcc_lo
	s_or_b32 vcc_lo, s8, s7
	s_wait_alu 0xfffe
	v_add_co_ci_u32_e32 v52, vcc_lo, 0, v52, vcc_lo
	v_and_b32_e32 v73, 7, v58
	s_or_b32 vcc_lo, s10, s9
	v_lshrrev_b32_e32 v58, 2, v58
	s_wait_alu 0xfffe
	v_add_co_ci_u32_e32 v54, vcc_lo, 0, v54, vcc_lo
	s_or_b32 vcc_lo, s12, s11
	v_cmp_lt_i32_e64 s13, 5, v73
	v_cmp_eq_u32_e64 s14, 3, v73
	s_wait_alu 0xfffe
	v_add_co_ci_u32_e32 v56, vcc_lo, 0, v56, vcc_lo
	v_and_b32_e32 v75, 7, v62
	v_lshrrev_b32_e32 v62, 2, v62
	s_or_b32 vcc_lo, s14, s13
	s_wait_alu 0xfffe
	v_add_co_ci_u32_e32 v58, vcc_lo, 0, v58, vcc_lo
	v_cmp_lt_i32_e64 s17, 5, v75
	v_cmp_eq_u32_e64 s18, 3, v75
	s_or_b32 vcc_lo, s16, s15
	s_wait_alu 0xfffe
	v_add_co_ci_u32_e32 v60, vcc_lo, 0, v60, vcc_lo
	s_delay_alu instid0(VALU_DEP_2)
	s_or_b32 vcc_lo, s18, s17
	s_wait_alu 0xfffe
	v_add_co_ci_u32_e32 v62, vcc_lo, 0, v62, vcc_lo
	v_cmp_gt_i32_e32 vcc_lo, 31, v35
	s_wait_alu 0xfffd
	v_cndmask_b32_e32 v15, 0x7c00, v15, vcc_lo
	v_cmp_gt_i32_e32 vcc_lo, 31, v47
	s_wait_alu 0xfffd
	v_cndmask_b32_e32 v36, 0x7c00, v36, vcc_lo
	;; [unrolled: 3-line block ×10, first 2 shown]
	v_cmp_eq_u32_e32 vcc_lo, 0x40f, v35
	s_wait_alu 0xfffd
	v_dual_cndmask_b32 v14, v15, v14 :: v_dual_add_nc_u32 v65, 0xfffffc10, v65
	v_cmp_eq_u32_e32 vcc_lo, 0x40f, v47
	s_delay_alu instid0(VALU_DEP_2) | instskip(NEXT) | instid1(VALU_DEP_3)
	v_lshl_or_b32 v87, v65, 12, v33
	v_and_or_b32 v14, 0x8000, v16, v14
	s_wait_alu 0xfffd
	v_cndmask_b32_e32 v10, v36, v10, vcc_lo
	v_cmp_eq_u32_e32 vcc_lo, 0x40f, v49
	s_delay_alu instid0(VALU_DEP_3) | instskip(NEXT) | instid1(VALU_DEP_3)
	v_and_b32_e32 v14, 0xffff, v14
	v_and_or_b32 v10, 0x8000, v11, v10
	s_wait_alu 0xfffd
	v_cndmask_b32_e32 v15, v48, v17, vcc_lo
	v_cmp_eq_u32_e32 vcc_lo, 0x40f, v51
	s_delay_alu instid0(VALU_DEP_3) | instskip(NEXT) | instid1(VALU_DEP_3)
	v_lshl_or_b32 v10, v10, 16, v14
	v_and_or_b32 v11, 0x8000, v18, v15
	s_wait_alu 0xfffd
	v_cndmask_b32_e32 v17, v50, v23, vcc_lo
	v_cmp_eq_u32_e32 vcc_lo, 0x40f, v53
	s_delay_alu instid0(VALU_DEP_3) | instskip(NEXT) | instid1(VALU_DEP_3)
	v_and_b32_e32 v11, 0xffff, v11
	v_and_or_b32 v15, 0x8000, v24, v17
	s_wait_alu 0xfffd
	v_cndmask_b32_e32 v8, v52, v8, vcc_lo
	v_cmp_eq_u32_e32 vcc_lo, 0x40f, v55
	s_delay_alu instid0(VALU_DEP_3) | instskip(NEXT) | instid1(VALU_DEP_3)
	;; [unrolled: 12-line block ×3, first 2 shown]
	v_lshl_or_b32 v8, v9, 16, v8
	v_and_or_b32 v16, 0x8000, v26, v23
	s_wait_alu 0xfffd
	v_cndmask_b32_e32 v25, v58, v27, vcc_lo
	v_cmp_eq_u32_e32 vcc_lo, 0x40f, v61
	s_delay_alu instid0(VALU_DEP_3) | instskip(NEXT) | instid1(VALU_DEP_3)
	v_and_b32_e32 v16, 0xffff, v16
	v_and_or_b32 v17, 0x8000, v28, v25
	s_wait_alu 0xfffd
	v_cndmask_b32_e32 v27, v60, v29, vcc_lo
	v_cmp_eq_u32_e32 vcc_lo, 0x40f, v63
	s_delay_alu instid0(VALU_DEP_3)
	v_lshl_or_b32 v9, v17, 16, v16
	s_clause 0x3
	global_store_b32 v[12:13], v10, off
	global_store_b32 v[37:38], v11, off
	;; [unrolled: 1-line block ×4, first 2 shown]
	s_wait_alu 0xfffd
	v_cndmask_b32_e32 v18, v62, v31, vcc_lo
	v_cmp_gt_i32_e32 vcc_lo, 1, v65
	v_mul_f64_e32 v[8:9], s[24:25], v[42:43]
	v_lshrrev_b32_e32 v10, 16, v32
	v_lshrrev_b32_e32 v11, 8, v1
	v_and_or_b32 v14, 0x8000, v30, v27
	s_wait_alu 0xfffd
	v_cndmask_b32_e32 v12, v87, v64, vcc_lo
	v_cmp_ne_u32_e32 vcc_lo, 0, v0
	v_and_or_b32 v13, 0x8000, v10, v18
	v_bfe_u32 v16, v1, 20, 11
	v_and_b32_e32 v14, 0xffff, v14
	v_and_b32_e32 v15, 7, v12
	s_wait_alu 0xfffd
	v_cndmask_b32_e64 v0, 0, 1, vcc_lo
	v_lshrrev_b32_e32 v12, 2, v12
	s_wait_loadcnt 0x3
	v_lshrrev_b32_e32 v22, 16, v4
	v_lshl_or_b32 v18, v13, 16, v14
	v_cmp_lt_i32_e32 vcc_lo, 5, v15
	v_and_or_b32 v0, 0xffe, v11, v0
	ds_load_2addr_b32 v[10:11], v3 offset0:27 offset1:104
	v_cmp_eq_u32_e64 s0, 3, v15
	v_sub_nc_u32_e32 v3, 0x3f1, v16
	v_add_nc_u32_e32 v24, 0xfffffc10, v16
	v_or_b32_e32 v17, 0x1000, v0
	v_lshrrev_b32_e32 v1, 16, v1
	s_or_b32 vcc_lo, s0, vcc_lo
	v_med3_i32 v3, v3, 0, 13
	s_wait_alu 0xfffe
	v_add_co_ci_u32_e32 v19, vcc_lo, 0, v12, vcc_lo
	v_mul_f64_e32 v[12:13], s[24:25], v[45:46]
	v_add_co_u32 v14, vcc_lo, v39, s22
	s_wait_alu 0xfffd
	v_add_co_ci_u32_e32 v15, vcc_lo, s23, v40, vcc_lo
	v_lshrrev_b32_e32 v20, v3, v17
	v_cmp_gt_i32_e32 vcc_lo, 31, v65
	global_store_b32 v[14:15], v18, off
	v_lshlrev_b32_e32 v3, v3, v20
	s_wait_alu 0xfffd
	v_cndmask_b32_e32 v19, 0x7c00, v19, vcc_lo
	s_wait_dscnt 0x0
	v_lshrrev_b32_e32 v21, 16, v10
	v_cmp_ne_u32_e32 vcc_lo, 0, v33
	v_and_or_b32 v8, 0x1ff, v9, v8
	v_lshrrev_b32_e32 v25, 8, v9
	v_bfe_u32 v26, v9, 20, 11
	v_mul_f16_e32 v16, v21, v22
	s_wait_alu 0xfffd
	v_cndmask_b32_e64 v23, 0, 1, vcc_lo
	v_cmp_ne_u32_e32 vcc_lo, v3, v17
	v_lshl_or_b32 v17, v24, 12, v0
	v_lshrrev_b32_e32 v9, 16, v9
	v_fmac_f16_e32 v16, v10, v4
	v_lshl_or_b32 v23, v23, 9, 0x7c00
	s_wait_alu 0xfffd
	v_cndmask_b32_e64 v3, 0, 1, vcc_lo
	v_cmp_ne_u32_e32 vcc_lo, 0, v8
	v_mul_f16_e32 v10, v10, v22
	v_cvt_f32_f16_e32 v16, v16
	s_delay_alu instid0(VALU_DEP_4)
	v_or_b32_e32 v3, v20, v3
	s_wait_alu 0xfffd
	v_cndmask_b32_e64 v8, 0, 1, vcc_lo
	v_cmp_gt_i32_e32 vcc_lo, 1, v24
	global_load_b32 v20, v41, s[20:21] offset:3388
	v_fma_f16 v4, v4, v21, -v10
	v_add_nc_u32_e32 v21, 0xfffffc10, v26
	v_and_or_b32 v8, 0xffe, v25, v8
	s_wait_alu 0xfffd
	v_cndmask_b32_e32 v3, v17, v3, vcc_lo
	v_cvt_f64_f32_e32 v[16:17], v16
	v_sub_nc_u32_e32 v25, 0x3f1, v26
	v_cmp_eq_u32_e32 vcc_lo, 0x40f, v65
	v_or_b32_e32 v28, 0x1000, v8
	v_and_or_b32 v12, 0x1ff, v13, v12
	v_and_b32_e32 v27, 7, v3
	v_med3_i32 v25, v25, 0, 13
	s_wait_alu 0xfffd
	v_cndmask_b32_e32 v19, v19, v23, vcc_lo
	v_lshrrev_b32_e32 v23, 16, v34
	v_cmp_ne_u32_e64 s1, 0, v12
	v_cmp_lt_i32_e32 vcc_lo, 5, v27
	v_cmp_eq_u32_e64 s0, 3, v27
	v_lshrrev_b32_e32 v27, 8, v13
	v_and_or_b32 v19, 0x8000, v23, v19
	v_lshrrev_b32_e32 v23, v25, v28
	s_wait_alu 0xf1ff
	v_cndmask_b32_e64 v12, 0, 1, s1
	v_bfe_u32 v29, v13, 20, 11
	v_lshrrev_b32_e32 v3, 2, v3
	s_or_b32 vcc_lo, s0, vcc_lo
	v_lshlrev_b32_e32 v22, v25, v23
	v_and_or_b32 v12, 0xffe, v27, v12
	v_sub_nc_u32_e32 v25, 0x3f1, v29
	s_wait_alu 0xfffe
	v_add_co_ci_u32_e32 v26, vcc_lo, 0, v3, vcc_lo
	v_cmp_ne_u32_e64 s1, v22, v28
	v_or_b32_e32 v22, 0x1000, v12
	v_med3_i32 v25, v25, 0, 13
	v_cmp_ne_u32_e32 vcc_lo, 0, v0
	v_cvt_f32_f16_e32 v4, v4
	s_wait_alu 0xf1ff
	v_cndmask_b32_e64 v10, 0, 1, s1
	v_and_b32_e32 v19, 0xffff, v19
	v_lshrrev_b32_e32 v27, v25, v22
	s_wait_alu 0xfffd
	v_cndmask_b32_e64 v0, 0, 1, vcc_lo
	v_cmp_gt_i32_e32 vcc_lo, 1, v21
	v_or_b32_e32 v10, v23, v10
	v_lshl_or_b32 v23, v21, 12, v8
	v_cvt_f64_f32_e32 v[3:4], v4
	v_lshl_or_b32 v0, v0, 9, 0x7c00
	v_mul_f64_e32 v[16:17], s[24:25], v[16:17]
	v_lshrrev_b32_e32 v13, 16, v13
	s_wait_alu 0xfffd
	v_dual_cndmask_b32 v10, v23, v10 :: v_dual_lshlrev_b32 v23, v25, v27
	v_cmp_gt_i32_e32 vcc_lo, 31, v24
	s_wait_alu 0xfffd
	v_cndmask_b32_e32 v25, 0x7c00, v26, vcc_lo
	s_delay_alu instid0(VALU_DEP_3)
	v_cmp_ne_u32_e32 vcc_lo, v23, v22
	v_add_nc_u32_e32 v23, 0xfffffc10, v29
	v_and_b32_e32 v26, 7, v10
	v_lshrrev_b32_e32 v10, 2, v10
	s_wait_alu 0xfffd
	v_cndmask_b32_e64 v22, 0, 1, vcc_lo
	v_cmp_eq_u32_e32 vcc_lo, 0x40f, v24
	v_lshl_or_b32 v24, v23, 12, v12
	v_cmp_gt_i32_e64 s1, 1, v23
	v_cmp_eq_u32_e64 s0, 3, v26
	v_or_b32_e32 v22, v27, v22
	s_wait_loadcnt 0x3
	v_lshrrev_b32_e32 v27, 16, v5
	s_wait_alu 0xf1ff
	s_delay_alu instid0(VALU_DEP_2)
	v_cndmask_b32_e64 v22, v24, v22, s1
	s_wait_alu 0xfffd
	v_cndmask_b32_e32 v0, v25, v0, vcc_lo
	v_cmp_lt_i32_e32 vcc_lo, 5, v26
	v_lshrrev_b32_e32 v26, 16, v11
	v_and_b32_e32 v25, 7, v22
	s_delay_alu instid0(VALU_DEP_4)
	v_and_or_b32 v24, 0x8000, v1, v0
	s_or_b32 vcc_lo, s0, vcc_lo
	s_wait_alu 0xfffe
	v_add_co_ci_u32_e32 v10, vcc_lo, 0, v10, vcc_lo
	v_cmp_gt_i32_e32 vcc_lo, 31, v21
	v_mul_f64_e32 v[0:1], s[24:25], v[3:4]
	v_cmp_eq_u32_e64 s0, 3, v25
	v_lshrrev_b32_e32 v3, 2, v22
	v_and_or_b32 v4, 0x1ff, v17, v16
	s_wait_alu 0xfffd
	v_cndmask_b32_e32 v10, 0x7c00, v10, vcc_lo
	v_cmp_ne_u32_e32 vcc_lo, 0, v8
	v_mul_f16_e32 v16, v26, v27
	v_lshrrev_b32_e32 v22, 8, v17
	v_lshl_or_b32 v18, v24, 16, v19
	s_wait_alu 0xfffd
	v_cndmask_b32_e64 v8, 0, 1, vcc_lo
	v_cmp_lt_i32_e32 vcc_lo, 5, v25
	v_fmac_f16_e32 v16, v11, v5
	v_bfe_u32 v25, v17, 20, 11
	s_delay_alu instid0(VALU_DEP_4) | instskip(SKIP_1) | instid1(VALU_DEP_3)
	v_lshl_or_b32 v8, v8, 9, 0x7c00
	s_or_b32 vcc_lo, s0, vcc_lo
	v_cvt_f32_f16_e32 v16, v16
	s_wait_alu 0xfffe
	v_add_co_ci_u32_e32 v3, vcc_lo, 0, v3, vcc_lo
	v_cmp_ne_u32_e32 vcc_lo, 0, v4
	v_sub_nc_u32_e32 v28, 0x3f1, v25
	s_wait_alu 0xfffd
	v_cndmask_b32_e64 v4, 0, 1, vcc_lo
	v_cmp_ne_u32_e32 vcc_lo, 0, v12
	s_delay_alu instid0(VALU_DEP_3) | instskip(NEXT) | instid1(VALU_DEP_3)
	v_med3_i32 v28, v28, 0, 13
	v_and_or_b32 v22, 0xffe, v22, v4
	s_wait_alu 0xfffd
	v_cndmask_b32_e64 v12, 0, 1, vcc_lo
	v_cmp_gt_i32_e32 vcc_lo, 31, v23
	s_delay_alu instid0(VALU_DEP_2)
	v_lshl_or_b32 v12, v12, 9, 0x7c00
	s_wait_alu 0xfffd
	v_cndmask_b32_e32 v29, 0x7c00, v3, vcc_lo
	v_cvt_f64_f32_e32 v[3:4], v16
	v_or_b32_e32 v16, 0x1000, v22
	v_cmp_eq_u32_e32 vcc_lo, 0x40f, v21
	v_and_or_b32 v0, 0x1ff, v1, v0
	s_wait_alu 0xfffd
	v_cndmask_b32_e32 v8, v10, v8, vcc_lo
	v_lshrrev_b32_e32 v10, v28, v16
	v_cmp_eq_u32_e32 vcc_lo, 0x40f, v23
	s_delay_alu instid0(VALU_DEP_2) | instskip(NEXT) | instid1(VALU_DEP_4)
	v_lshlrev_b32_e32 v19, v28, v10
	v_and_or_b32 v21, 0x8000, v9, v8
	s_wait_alu 0xfffd
	v_cndmask_b32_e32 v12, v29, v12, vcc_lo
	v_mul_f16_e32 v8, v11, v27
	v_cmp_ne_u32_e32 vcc_lo, v19, v16
	v_add_nc_u32_e32 v16, 0xfffffc10, v25
	v_bfe_u32 v19, v1, 20, 11
	s_delay_alu instid0(VALU_DEP_4)
	v_fma_f16 v5, v5, v26, -v8
	v_lshrrev_b32_e32 v8, 8, v1
	s_wait_alu 0xfffd
	v_cndmask_b32_e64 v9, 0, 1, vcc_lo
	v_cmp_ne_u32_e32 vcc_lo, 0, v0
	v_lshl_or_b32 v11, v16, 12, v22
	v_cvt_f32_f16_e32 v5, v5
	s_delay_alu instid0(VALU_DEP_4) | instskip(SKIP_3) | instid1(VALU_DEP_2)
	v_or_b32_e32 v10, v10, v9
	s_wait_alu 0xfffd
	v_cndmask_b32_e64 v0, 0, 1, vcc_lo
	v_cmp_gt_i32_e32 vcc_lo, 1, v16
	v_and_or_b32 v0, 0xffe, v8, v0
	v_cvt_f64_f32_e32 v[8:9], v5
	s_wait_alu 0xfffd
	v_dual_cndmask_b32 v24, v11, v10 :: v_dual_add_nc_u32 v5, 0xa00, v44
	v_mul_f64_e32 v[3:4], s[24:25], v[3:4]
	v_or_b32_e32 v25, 0x1000, v0
	ds_load_2addr_b32 v[10:11], v5 offset0:53 offset1:130
	v_and_b32_e32 v5, 0xffff, v21
	v_and_or_b32 v23, 0x8000, v13, v12
	v_sub_nc_u32_e32 v12, 0x3f1, v19
	v_and_b32_e32 v21, 7, v24
	s_delay_alu instid0(VALU_DEP_3) | instskip(NEXT) | instid1(VALU_DEP_3)
	v_lshl_or_b32 v23, v23, 16, v5
	v_med3_i32 v26, v12, 0, 13
	v_add_co_u32 v12, vcc_lo, v14, s22
	s_wait_alu 0xfffd
	v_add_co_ci_u32_e32 v13, vcc_lo, s23, v15, vcc_lo
	s_delay_alu instid0(VALU_DEP_3)
	v_lshrrev_b32_e32 v27, v26, v25
	v_cmp_lt_i32_e32 vcc_lo, 5, v21
	v_cmp_eq_u32_e64 s0, 3, v21
	v_lshrrev_b32_e32 v5, 2, v24
	s_wait_loadcnt 0x2
	v_lshrrev_b32_e32 v24, 16, v6
	v_lshlrev_b32_e32 v14, v26, v27
	s_or_b32 vcc_lo, s0, vcc_lo
	s_wait_dscnt 0x0
	v_lshrrev_b32_e32 v21, 16, v10
	s_wait_alu 0xfffe
	v_add_co_ci_u32_e32 v5, vcc_lo, 0, v5, vcc_lo
	v_cmp_ne_u32_e64 s1, v14, v25
	v_cmp_ne_u32_e32 vcc_lo, 0, v22
	v_mul_f16_e32 v25, v21, v24
	s_wait_alu 0xf1ff
	s_delay_alu instid0(VALU_DEP_3)
	v_cndmask_b32_e64 v14, 0, 1, s1
	s_wait_alu 0xfffd
	v_cndmask_b32_e64 v22, 0, 1, vcc_lo
	v_fmac_f16_e32 v25, v10, v6
	v_mul_f64_e32 v[8:9], s[24:25], v[8:9]
	v_or_b32_e32 v14, v27, v14
	v_add_nc_u32_e32 v19, 0xfffffc10, v19
	v_and_or_b32 v3, 0x1ff, v4, v3
	s_delay_alu instid0(VALU_DEP_2) | instskip(SKIP_1) | instid1(VALU_DEP_3)
	v_lshl_or_b32 v15, v19, 12, v0
	v_cmp_gt_i32_e32 vcc_lo, 1, v19
	v_cmp_ne_u32_e64 s1, 0, v3
	s_wait_alu 0xfffd
	s_delay_alu instid0(VALU_DEP_3)
	v_cndmask_b32_e32 v26, v15, v14, vcc_lo
	v_cmp_gt_i32_e32 vcc_lo, 31, v16
	v_lshl_or_b32 v14, v22, 9, 0x7c00
	s_wait_alu 0xf1ff
	v_cndmask_b32_e64 v3, 0, 1, s1
	v_lshrrev_b32_e32 v22, 8, v4
	v_and_b32_e32 v15, 7, v26
	s_wait_alu 0xfffd
	v_cndmask_b32_e32 v5, 0x7c00, v5, vcc_lo
	v_cmp_eq_u32_e32 vcc_lo, 0x40f, v16
	v_lshrrev_b32_e32 v16, 16, v17
	v_lshrrev_b32_e32 v17, 2, v26
	v_cmp_eq_u32_e64 s0, 3, v15
	v_and_or_b32 v3, 0xffe, v22, v3
	s_wait_alu 0xfffd
	v_cndmask_b32_e32 v5, v5, v14, vcc_lo
	v_cvt_f32_f16_e32 v14, v25
	v_cmp_lt_i32_e32 vcc_lo, 5, v15
	v_bfe_u32 v25, v4, 20, 11
	v_or_b32_e32 v26, 0x1000, v3
	v_and_or_b32 v5, 0x8000, v16, v5
	v_cvt_f64_f32_e32 v[14:15], v14
	s_or_b32 vcc_lo, s0, vcc_lo
	v_sub_nc_u32_e32 v22, 0x3f1, v25
	s_wait_alu 0xfffe
	v_add_co_ci_u32_e32 v17, vcc_lo, 0, v17, vcc_lo
	v_cmp_ne_u32_e32 vcc_lo, 0, v0
	v_and_or_b32 v8, 0x1ff, v9, v8
	v_med3_i32 v22, v22, 0, 13
	v_lshrrev_b32_e32 v4, 16, v4
	s_wait_alu 0xfffd
	v_cndmask_b32_e64 v0, 0, 1, vcc_lo
	v_cmp_gt_i32_e32 vcc_lo, 31, v19
	s_delay_alu instid0(VALU_DEP_2)
	v_lshl_or_b32 v0, v0, 9, 0x7c00
	s_wait_alu 0xfffd
	v_cndmask_b32_e32 v17, 0x7c00, v17, vcc_lo
	v_cmp_eq_u32_e32 vcc_lo, 0x40f, v19
	v_lshrrev_b32_e32 v19, v22, v26
	s_wait_alu 0xfffd
	s_delay_alu instid0(VALU_DEP_3) | instskip(NEXT) | instid1(VALU_DEP_2)
	v_cndmask_b32_e32 v16, v17, v0, vcc_lo
	v_lshlrev_b32_e32 v22, v22, v19
	v_add_co_u32 v0, vcc_lo, v12, s22
	v_lshrrev_b32_e32 v17, 16, v1
	s_wait_alu 0xfffd
	v_add_co_ci_u32_e32 v1, vcc_lo, s23, v13, vcc_lo
	v_cmp_ne_u32_e32 vcc_lo, v22, v26
	v_add_nc_u32_e32 v22, 0xfffffc10, v25
	v_and_or_b32 v16, 0x8000, v17, v16
	v_and_b32_e32 v17, 0xffff, v5
	v_mul_f16_e32 v5, v10, v24
	s_wait_alu 0xfffd
	v_cndmask_b32_e64 v10, 0, 1, vcc_lo
	v_cmp_ne_u32_e32 vcc_lo, 0, v8
	v_bfe_u32 v24, v9, 20, 11
	global_store_b32 v[12:13], v18, off
	global_store_b32 v[0:1], v23, off
	v_fma_f16 v21, v6, v21, -v5
	v_mul_f64_e32 v[5:6], s[24:25], v[14:15]
	s_wait_alu 0xfffd
	v_cndmask_b32_e64 v8, 0, 1, vcc_lo
	v_or_b32_e32 v10, v19, v10
	v_lshl_or_b32 v19, v22, 12, v3
	v_cmp_gt_i32_e32 vcc_lo, 1, v22
	v_lshrrev_b32_e32 v14, 8, v9
	v_cvt_f32_f16_e32 v15, v21
	v_sub_nc_u32_e32 v21, 0x3f1, v24
	v_lshrrev_b32_e32 v18, 16, v11
	s_wait_alu 0xfffd
	v_cndmask_b32_e32 v10, v19, v10, vcc_lo
	v_and_or_b32 v8, 0xffe, v14, v8
	v_cvt_f64_f32_e32 v[14:15], v15
	v_med3_i32 v21, v21, 0, 13
	v_add_co_u32 v0, vcc_lo, v0, s22
	v_and_b32_e32 v12, 7, v10
	v_or_b32_e32 v19, 0x1000, v8
	s_wait_alu 0xfffd
	v_add_co_ci_u32_e32 v1, vcc_lo, s23, v1, vcc_lo
	v_lshrrev_b32_e32 v10, 2, v10
	v_cmp_lt_i32_e32 vcc_lo, 5, v12
	v_cmp_eq_u32_e64 s0, 3, v12
	v_lshrrev_b32_e32 v13, v21, v19
	v_lshl_or_b32 v16, v16, 16, v17
	v_lshrrev_b32_e32 v9, 16, v9
	s_delay_alu instid0(VALU_DEP_4)
	s_or_b32 vcc_lo, s0, vcc_lo
	s_wait_alu 0xfffe
	v_add_co_ci_u32_e32 v10, vcc_lo, 0, v10, vcc_lo
	v_lshlrev_b32_e32 v17, v21, v13
	s_wait_loadcnt 0x1
	v_lshrrev_b32_e32 v21, 16, v7
	v_cmp_ne_u32_e32 vcc_lo, 0, v3
	s_delay_alu instid0(VALU_DEP_3) | instskip(SKIP_1) | instid1(VALU_DEP_4)
	v_cmp_ne_u32_e64 s1, v17, v19
	v_add_nc_u32_e32 v17, 0xfffffc10, v24
	v_mul_f16_e32 v19, v18, v21
	v_and_or_b32 v5, 0x1ff, v6, v5
	s_wait_alu 0xfffd
	v_cndmask_b32_e64 v3, 0, 1, vcc_lo
	s_wait_alu 0xf1ff
	v_cndmask_b32_e64 v12, 0, 1, s1
	v_cmp_gt_i32_e32 vcc_lo, 1, v17
	v_fmac_f16_e32 v19, v11, v7
	v_bfe_u32 v24, v6, 20, 11
	v_lshl_or_b32 v3, v3, 9, 0x7c00
	v_or_b32_e32 v12, v13, v12
	v_lshl_or_b32 v13, v17, 12, v8
	v_cvt_f32_f16_e32 v19, v19
	v_cmp_eq_u32_e64 s1, 0x40f, v22
	v_mul_f64_e32 v[14:15], s[24:25], v[14:15]
	v_mul_f16_e32 v11, v11, v21
	s_wait_alu 0xfffd
	v_cndmask_b32_e32 v23, v13, v12, vcc_lo
	v_cmp_ne_u32_e32 vcc_lo, 0, v5
	v_cvt_f64_f32_e32 v[12:13], v19
	v_lshrrev_b32_e32 v19, 8, v6
	v_fma_f16 v7, v7, v18, -v11
	v_and_b32_e32 v25, 7, v23
	s_wait_alu 0xfffd
	v_cndmask_b32_e64 v5, 0, 1, vcc_lo
	v_cmp_gt_i32_e32 vcc_lo, 31, v22
	s_wait_loadcnt 0x0
	v_lshrrev_b32_e32 v18, 16, v20
	v_cvt_f32_f16_e32 v7, v7
	v_cmp_eq_u32_e64 s0, 3, v25
	v_and_or_b32 v19, 0xffe, v19, v5
	s_wait_alu 0xfffd
	v_cndmask_b32_e32 v10, 0x7c00, v10, vcc_lo
	v_sub_nc_u32_e32 v5, 0x3f1, v24
	v_cmp_lt_i32_e32 vcc_lo, 5, v25
	v_add_nc_u32_e32 v24, 0xfffffc10, v24
	v_or_b32_e32 v25, 0x1000, v19
	s_wait_alu 0xf1ff
	v_cndmask_b32_e64 v3, v10, v3, s1
	v_lshrrev_b32_e32 v10, 2, v23
	v_med3_i32 v5, v5, 0, 13
	s_or_b32 vcc_lo, s0, vcc_lo
	v_lshrrev_b32_e32 v6, 16, v6
	v_and_or_b32 v23, 0x8000, v4, v3
	s_wait_alu 0xfffe
	v_add_co_ci_u32_e32 v10, vcc_lo, 0, v10, vcc_lo
	v_lshrrev_b32_e32 v22, v5, v25
	v_cmp_ne_u32_e32 vcc_lo, 0, v8
	v_and_b32_e32 v21, 0xffff, v23
	s_delay_alu instid0(VALU_DEP_3) | instskip(SKIP_3) | instid1(VALU_DEP_2)
	v_lshlrev_b32_e32 v5, v5, v22
	s_wait_alu 0xfffd
	v_cndmask_b32_e64 v8, 0, 1, vcc_lo
	v_cmp_gt_i32_e32 vcc_lo, 31, v17
	v_lshl_or_b32 v4, v8, 9, 0x7c00
	s_wait_alu 0xfffd
	v_cndmask_b32_e32 v3, 0x7c00, v10, vcc_lo
	v_cmp_ne_u32_e32 vcc_lo, v5, v25
	s_wait_alu 0xfffd
	v_cndmask_b32_e64 v5, 0, 1, vcc_lo
	v_cmp_eq_u32_e32 vcc_lo, 0x40f, v17
	v_lshl_or_b32 v17, v24, 12, v19
	s_delay_alu instid0(VALU_DEP_3)
	v_or_b32_e32 v10, v22, v5
	s_wait_alu 0xfffd
	v_cndmask_b32_e32 v8, v3, v4, vcc_lo
	ds_load_2addr_b32 v[2:3], v2 offset0:79 offset1:156
	v_mul_f64_e32 v[4:5], s[24:25], v[12:13]
	v_and_or_b32 v12, 0x1ff, v15, v14
	v_cmp_gt_i32_e32 vcc_lo, 1, v24
	v_bfe_u32 v13, v15, 20, 11
	v_and_or_b32 v9, 0x8000, v9, v8
	v_cvt_f64_f32_e32 v[7:8], v7
	s_wait_alu 0xfffd
	v_cndmask_b32_e32 v10, v17, v10, vcc_lo
	v_cmp_ne_u32_e32 vcc_lo, 0, v12
	v_lshrrev_b32_e32 v12, 8, v15
	v_lshl_or_b32 v21, v9, 16, v21
	v_lshrrev_b32_e32 v15, 16, v15
	v_and_b32_e32 v14, 7, v10
	s_wait_alu 0xfffd
	v_cndmask_b32_e64 v11, 0, 1, vcc_lo
	v_lshrrev_b32_e32 v9, 2, v10
	s_delay_alu instid0(VALU_DEP_3) | instskip(NEXT) | instid1(VALU_DEP_3)
	v_cmp_lt_i32_e32 vcc_lo, 5, v14
	v_and_or_b32 v17, 0xffe, v12, v11
	v_sub_nc_u32_e32 v11, 0x3f1, v13
	s_wait_dscnt 0x0
	v_lshrrev_b32_e32 v12, 16, v2
	v_cmp_eq_u32_e64 s0, 3, v14
	v_or_b32_e32 v22, 0x1000, v17
	v_med3_i32 v11, v11, 0, 13
	s_delay_alu instid0(VALU_DEP_4) | instskip(NEXT) | instid1(VALU_DEP_4)
	v_mul_f16_e32 v23, v12, v18
	s_or_b32 vcc_lo, s0, vcc_lo
	s_wait_alu 0xfffe
	v_add_co_ci_u32_e32 v9, vcc_lo, 0, v9, vcc_lo
	v_lshrrev_b32_e32 v14, v11, v22
	v_fmac_f16_e32 v23, v2, v20
	v_cmp_ne_u32_e32 vcc_lo, 0, v19
	v_mul_f16_e32 v2, v2, v18
	s_delay_alu instid0(VALU_DEP_4) | instskip(NEXT) | instid1(VALU_DEP_4)
	v_lshlrev_b32_e32 v11, v11, v14
	v_cvt_f32_f16_e32 v19, v23
	s_wait_alu 0xfffd
	v_cndmask_b32_e64 v10, 0, 1, vcc_lo
	v_cmp_gt_i32_e32 vcc_lo, 31, v24
	v_and_or_b32 v4, 0x1ff, v5, v4
	v_bfe_u32 v18, v5, 20, 11
	v_fma_f16 v2, v20, v12, -v2
	v_lshl_or_b32 v25, v10, 9, 0x7c00
	s_wait_alu 0xfffd
	v_cndmask_b32_e32 v23, 0x7c00, v9, vcc_lo
	v_cvt_f64_f32_e32 v[9:10], v19
	v_cmp_ne_u32_e32 vcc_lo, v11, v22
	v_add_nc_u32_e32 v19, 0xfffffc10, v13
	v_lshrrev_b32_e32 v13, 8, v5
	v_mul_f64_e32 v[7:8], s[24:25], v[7:8]
	v_cvt_f32_f16_e32 v2, v2
	s_wait_alu 0xfffd
	v_cndmask_b32_e64 v11, 0, 1, vcc_lo
	v_cmp_ne_u32_e32 vcc_lo, 0, v4
	v_lshl_or_b32 v12, v19, 12, v17
	v_lshrrev_b32_e32 v5, 16, v5
	s_delay_alu instid0(VALU_DEP_4) | instskip(SKIP_3) | instid1(VALU_DEP_2)
	v_or_b32_e32 v11, v14, v11
	s_wait_alu 0xfffd
	v_cndmask_b32_e64 v4, 0, 1, vcc_lo
	v_cmp_gt_i32_e32 vcc_lo, 1, v19
	v_and_or_b32 v4, 0xffe, v13, v4
	v_sub_nc_u32_e32 v13, 0x3f1, v18
	s_wait_alu 0xfffd
	v_cndmask_b32_e32 v20, v12, v11, vcc_lo
	v_cmp_eq_u32_e32 vcc_lo, 0x40f, v24
	v_cvt_f64_f32_e32 v[11:12], v2
	v_or_b32_e32 v22, 0x1000, v4
	v_med3_i32 v26, v13, 0, 13
	v_add_nc_u32_e32 v18, 0xfffffc10, v18
	s_wait_alu 0xfffd
	v_dual_cndmask_b32 v2, v23, v25 :: v_dual_and_b32 v23, 7, v20
	v_add_co_u32 v13, vcc_lo, v0, s22
	v_lshrrev_b32_e32 v24, v26, v22
	s_wait_alu 0xfffd
	v_add_co_ci_u32_e32 v14, vcc_lo, s23, v1, vcc_lo
	v_cmp_lt_i32_e32 vcc_lo, 5, v23
	v_cmp_eq_u32_e64 s0, 3, v23
	v_and_or_b32 v2, 0x8000, v6, v2
	v_lshrrev_b32_e32 v6, 2, v20
	v_lshlrev_b32_e32 v25, v26, v24
	s_delay_alu instid0(VALU_DEP_4)
	s_or_b32 vcc_lo, s0, vcc_lo
	v_mul_f64_e32 v[9:10], s[24:25], v[9:10]
	s_wait_alu 0xfffe
	v_add_co_ci_u32_e32 v6, vcc_lo, 0, v6, vcc_lo
	v_cmp_ne_u32_e64 s1, v25, v22
	v_cmp_ne_u32_e32 vcc_lo, 0, v17
	v_lshl_or_b32 v22, v18, 12, v4
	v_and_or_b32 v7, 0x1ff, v8, v7
	v_and_b32_e32 v2, 0xffff, v2
	s_wait_alu 0xf1ff
	v_cndmask_b32_e64 v20, 0, 1, s1
	s_wait_alu 0xfffd
	v_cndmask_b32_e64 v17, 0, 1, vcc_lo
	v_cmp_gt_i32_e32 vcc_lo, 31, v19
	v_lshrrev_b32_e32 v23, 8, v8
	v_or_b32_e32 v20, v24, v20
	s_delay_alu instid0(VALU_DEP_4)
	v_lshl_or_b32 v17, v17, 9, 0x7c00
	s_wait_alu 0xfffd
	v_cndmask_b32_e32 v6, 0x7c00, v6, vcc_lo
	v_cmp_gt_i32_e32 vcc_lo, 1, v18
	s_wait_alu 0xfffd
	v_cndmask_b32_e32 v20, v22, v20, vcc_lo
	v_cmp_eq_u32_e32 vcc_lo, 0x40f, v19
	s_delay_alu instid0(VALU_DEP_2)
	v_and_b32_e32 v19, 7, v20
	s_wait_alu 0xfffd
	v_cndmask_b32_e32 v17, v6, v17, vcc_lo
	v_cmp_ne_u32_e32 vcc_lo, 0, v7
	v_mul_f64_e32 v[6:7], s[24:25], v[11:12]
	v_bfe_u32 v11, v8, 20, 11
	v_cmp_eq_u32_e64 s0, 3, v19
	v_and_or_b32 v12, 0x8000, v15, v17
	s_wait_alu 0xfffd
	v_cndmask_b32_e64 v22, 0, 1, vcc_lo
	v_cmp_lt_i32_e32 vcc_lo, 5, v19
	v_sub_nc_u32_e32 v17, 0x3f1, v11
	v_lshrrev_b32_e32 v8, 16, v8
	v_lshl_or_b32 v2, v12, 16, v2
	v_lshrrev_b32_e32 v12, 2, v20
	v_and_or_b32 v15, 0xffe, v23, v22
	s_or_b32 vcc_lo, s0, vcc_lo
	v_med3_i32 v17, v17, 0, 13
	v_and_or_b32 v9, 0x1ff, v10, v9
	s_wait_alu 0xfffe
	v_add_co_ci_u32_e32 v12, vcc_lo, 0, v12, vcc_lo
	v_or_b32_e32 v19, 0x1000, v15
	v_cmp_ne_u32_e32 vcc_lo, 0, v4
	v_lshrrev_b32_e32 v22, 8, v10
	v_bfe_u32 v23, v10, 20, 11
	v_lshrrev_b32_e32 v10, 16, v10
	v_lshrrev_b32_e32 v20, v17, v19
	s_wait_alu 0xfffd
	v_cndmask_b32_e64 v4, 0, 1, vcc_lo
	v_cmp_gt_i32_e32 vcc_lo, 31, v18
	s_delay_alu instid0(VALU_DEP_3) | instskip(NEXT) | instid1(VALU_DEP_3)
	v_lshlrev_b32_e32 v17, v17, v20
	v_lshl_or_b32 v4, v4, 9, 0x7c00
	s_wait_alu 0xfffd
	v_cndmask_b32_e32 v12, 0x7c00, v12, vcc_lo
	v_cmp_ne_u32_e32 vcc_lo, 0, v9
	s_wait_alu 0xfffd
	v_cndmask_b32_e64 v9, 0, 1, vcc_lo
	v_cmp_ne_u32_e32 vcc_lo, v17, v19
	v_sub_nc_u32_e32 v19, 0x3f1, v23
	v_and_or_b32 v6, 0x1ff, v7, v6
	s_delay_alu instid0(VALU_DEP_4)
	v_and_or_b32 v9, 0xffe, v22, v9
	s_wait_alu 0xfffd
	v_cndmask_b32_e64 v17, 0, 1, vcc_lo
	v_cmp_eq_u32_e32 vcc_lo, 0x40f, v18
	v_med3_i32 v19, v19, 0, 13
	v_bfe_u32 v22, v7, 20, 11
	v_or_b32_e32 v18, 0x1000, v9
	s_wait_alu 0xfffd
	v_cndmask_b32_e32 v4, v12, v4, vcc_lo
	v_or_b32_e32 v12, v20, v17
	v_add_nc_u32_e32 v11, 0xfffffc10, v11
	v_lshrrev_b32_e32 v20, 8, v7
	v_lshrrev_b32_e32 v7, 16, v7
	v_and_or_b32 v4, 0x8000, v5, v4
	s_delay_alu instid0(VALU_DEP_4) | instskip(SKIP_2) | instid1(VALU_DEP_2)
	v_lshl_or_b32 v17, v11, 12, v15
	v_cmp_gt_i32_e32 vcc_lo, 1, v11
	s_wait_alu 0xfffd
	v_cndmask_b32_e32 v12, v17, v12, vcc_lo
	v_lshrrev_b32_e32 v17, v19, v18
	v_cmp_ne_u32_e32 vcc_lo, 0, v6
	s_delay_alu instid0(VALU_DEP_3) | instskip(NEXT) | instid1(VALU_DEP_3)
	v_and_b32_e32 v24, 7, v12
	v_lshlrev_b32_e32 v19, v19, v17
	s_wait_alu 0xfffd
	v_cndmask_b32_e64 v6, 0, 1, vcc_lo
	v_lshrrev_b32_e32 v12, 2, v12
	v_cmp_lt_i32_e32 vcc_lo, 5, v24
	v_cmp_ne_u32_e64 s0, v19, v18
	s_delay_alu instid0(VALU_DEP_4)
	v_and_or_b32 v5, 0xffe, v20, v6
	v_sub_nc_u32_e32 v6, 0x3f1, v22
	v_add_nc_u32_e32 v20, 0xfffffc10, v23
	s_wait_alu 0xf1ff
	v_cndmask_b32_e64 v18, 0, 1, s0
	v_cmp_eq_u32_e64 s0, 3, v24
	v_or_b32_e32 v19, 0x1000, v5
	v_med3_i32 v6, v6, 0, 13
	v_lshl_or_b32 v23, v20, 12, v9
	v_or_b32_e32 v17, v17, v18
	s_or_b32 vcc_lo, s0, vcc_lo
	s_wait_alu 0xfffe
	v_add_co_ci_u32_e32 v12, vcc_lo, 0, v12, vcc_lo
	v_lshrrev_b32_e32 v18, v6, v19
	v_cmp_gt_i32_e32 vcc_lo, 1, v20
	s_wait_alu 0xfffd
	s_delay_alu instid0(VALU_DEP_2) | instskip(SKIP_3) | instid1(VALU_DEP_3)
	v_dual_cndmask_b32 v17, v23, v17 :: v_dual_lshlrev_b32 v6, v6, v18
	v_cmp_ne_u32_e32 vcc_lo, 0, v15
	s_wait_alu 0xfffd
	v_cndmask_b32_e64 v15, 0, 1, vcc_lo
	v_cmp_ne_u32_e32 vcc_lo, v6, v19
	v_add_nc_u32_e32 v19, 0xfffffc10, v22
	v_and_b32_e32 v22, 7, v17
	s_delay_alu instid0(VALU_DEP_4)
	v_lshl_or_b32 v15, v15, 9, 0x7c00
	s_wait_alu 0xfffd
	v_cndmask_b32_e64 v6, 0, 1, vcc_lo
	v_cmp_gt_i32_e32 vcc_lo, 31, v11
	v_cmp_gt_i32_e64 s1, 1, v19
	v_cmp_eq_u32_e64 s0, 3, v22
	s_delay_alu instid0(VALU_DEP_4) | instskip(SKIP_2) | instid1(VALU_DEP_1)
	v_or_b32_e32 v6, v18, v6
	v_lshl_or_b32 v18, v19, 12, v5
	s_wait_alu 0xf1ff
	v_cndmask_b32_e64 v6, v18, v6, s1
	s_wait_alu 0xfffd
	v_cndmask_b32_e32 v12, 0x7c00, v12, vcc_lo
	v_cmp_eq_u32_e64 s1, 0x40f, v11
	v_cmp_lt_i32_e32 vcc_lo, 5, v22
	s_wait_alu 0xf1ff
	s_delay_alu instid0(VALU_DEP_2)
	v_cndmask_b32_e64 v11, v12, v15, s1
	v_and_b32_e32 v15, 7, v6
	v_lshrrev_b32_e32 v12, 2, v17
	s_or_b32 vcc_lo, s0, vcc_lo
	v_lshrrev_b32_e32 v6, 2, v6
	v_cmp_gt_i32_e64 s1, 31, v20
	v_cmp_eq_u32_e64 s0, 3, v15
	s_wait_alu 0xfffe
	v_add_co_ci_u32_e32 v12, vcc_lo, 0, v12, vcc_lo
	v_cmp_ne_u32_e32 vcc_lo, 0, v9
	v_and_or_b32 v8, 0x8000, v8, v11
	v_and_b32_e32 v11, 0xffff, v4
	s_wait_alu 0xf1ff
	v_cndmask_b32_e64 v12, 0x7c00, v12, s1
	s_wait_alu 0xfffd
	v_cndmask_b32_e64 v9, 0, 1, vcc_lo
	v_cmp_lt_i32_e32 vcc_lo, 5, v15
	s_delay_alu instid0(VALU_DEP_2)
	v_lshl_or_b32 v9, v9, 9, 0x7c00
	s_or_b32 vcc_lo, s0, vcc_lo
	s_wait_alu 0xfffe
	v_add_co_ci_u32_e32 v6, vcc_lo, 0, v6, vcc_lo
	v_cmp_ne_u32_e32 vcc_lo, 0, v5
	s_wait_alu 0xfffd
	v_cndmask_b32_e64 v5, 0, 1, vcc_lo
	v_cmp_eq_u32_e32 vcc_lo, 0x40f, v20
	s_delay_alu instid0(VALU_DEP_2) | instskip(SKIP_3) | instid1(VALU_DEP_2)
	v_lshl_or_b32 v5, v5, 9, 0x7c00
	s_wait_alu 0xfffd
	v_cndmask_b32_e32 v9, v12, v9, vcc_lo
	v_cmp_gt_i32_e32 vcc_lo, 31, v19
	v_and_or_b32 v9, 0x8000, v10, v9
	s_wait_alu 0xfffd
	v_cndmask_b32_e32 v6, 0x7c00, v6, vcc_lo
	v_cmp_eq_u32_e32 vcc_lo, 0x40f, v19
	v_lshl_or_b32 v10, v8, 16, v11
	v_and_b32_e32 v9, 0xffff, v9
	s_wait_alu 0xfffd
	v_cndmask_b32_e32 v6, v6, v5, vcc_lo
	v_add_co_u32 v4, vcc_lo, v13, s22
	s_wait_alu 0xfffd
	v_add_co_ci_u32_e32 v5, vcc_lo, s23, v14, vcc_lo
	s_delay_alu instid0(VALU_DEP_3) | instskip(NEXT) | instid1(VALU_DEP_3)
	v_and_or_b32 v8, 0x8000, v7, v6
	v_add_co_u32 v6, vcc_lo, v4, s22
	s_wait_alu 0xfffd
	s_delay_alu instid0(VALU_DEP_3) | instskip(NEXT) | instid1(VALU_DEP_3)
	v_add_co_ci_u32_e32 v7, vcc_lo, s23, v5, vcc_lo
	v_lshl_or_b32 v11, v8, 16, v9
	s_delay_alu instid0(VALU_DEP_3) | instskip(SKIP_1) | instid1(VALU_DEP_3)
	v_add_co_u32 v8, vcc_lo, v6, s22
	s_wait_alu 0xfffd
	v_add_co_ci_u32_e32 v9, vcc_lo, s23, v7, vcc_lo
	global_store_b32 v[0:1], v16, off
	global_store_b32 v[13:14], v21, off
	;; [unrolled: 1-line block ×5, first 2 shown]
	global_load_b32 v0, v41, s[20:21] offset:3696
	v_lshrrev_b32_e32 v1, 16, v3
	s_wait_loadcnt 0x0
	v_lshrrev_b32_e32 v2, 16, v0
	s_delay_alu instid0(VALU_DEP_1) | instskip(SKIP_1) | instid1(VALU_DEP_2)
	v_mul_f16_e32 v4, v1, v2
	v_mul_f16_e32 v2, v3, v2
	v_fmac_f16_e32 v4, v3, v0
	s_delay_alu instid0(VALU_DEP_2) | instskip(NEXT) | instid1(VALU_DEP_2)
	v_fma_f16 v0, v0, v1, -v2
	v_cvt_f32_f16_e32 v1, v4
	s_delay_alu instid0(VALU_DEP_2) | instskip(NEXT) | instid1(VALU_DEP_2)
	v_cvt_f32_f16_e32 v2, v0
	v_cvt_f64_f32_e32 v[0:1], v1
	s_delay_alu instid0(VALU_DEP_2) | instskip(NEXT) | instid1(VALU_DEP_2)
	v_cvt_f64_f32_e32 v[2:3], v2
	v_mul_f64_e32 v[0:1], s[24:25], v[0:1]
	s_delay_alu instid0(VALU_DEP_2) | instskip(NEXT) | instid1(VALU_DEP_2)
	v_mul_f64_e32 v[2:3], s[24:25], v[2:3]
	v_and_or_b32 v0, 0x1ff, v1, v0
	s_delay_alu instid0(VALU_DEP_2)
	v_and_or_b32 v2, 0x1ff, v3, v2
	v_lshrrev_b32_e32 v4, 8, v1
	v_bfe_u32 v5, v1, 20, 11
	v_lshrrev_b32_e32 v6, 8, v3
	v_cmp_ne_u32_e32 vcc_lo, 0, v0
	v_bfe_u32 v7, v3, 20, 11
	v_lshrrev_b32_e32 v1, 16, v1
	v_lshrrev_b32_e32 v3, 16, v3
	s_wait_alu 0xfffd
	v_cndmask_b32_e64 v0, 0, 1, vcc_lo
	v_cmp_ne_u32_e32 vcc_lo, 0, v2
	s_delay_alu instid0(VALU_DEP_2)
	v_and_or_b32 v0, 0xffe, v4, v0
	s_wait_alu 0xfffd
	v_cndmask_b32_e64 v2, 0, 1, vcc_lo
	v_sub_nc_u32_e32 v4, 0x3f1, v5
	v_add_nc_u32_e32 v5, 0xfffffc10, v5
	v_or_b32_e32 v10, 0x1000, v0
	s_delay_alu instid0(VALU_DEP_4) | instskip(SKIP_3) | instid1(VALU_DEP_4)
	v_and_or_b32 v2, 0xffe, v6, v2
	v_sub_nc_u32_e32 v6, 0x3f1, v7
	v_med3_i32 v4, v4, 0, 13
	v_add_nc_u32_e32 v7, 0xfffffc10, v7
	v_or_b32_e32 v11, 0x1000, v2
	s_delay_alu instid0(VALU_DEP_4) | instskip(NEXT) | instid1(VALU_DEP_4)
	v_med3_i32 v6, v6, 0, 13
	v_lshrrev_b32_e32 v12, v4, v10
	s_delay_alu instid0(VALU_DEP_2) | instskip(NEXT) | instid1(VALU_DEP_2)
	v_lshrrev_b32_e32 v13, v6, v11
	v_lshlrev_b32_e32 v4, v4, v12
	s_delay_alu instid0(VALU_DEP_2) | instskip(NEXT) | instid1(VALU_DEP_2)
	v_lshlrev_b32_e32 v6, v6, v13
	v_cmp_ne_u32_e32 vcc_lo, v4, v10
	v_lshl_or_b32 v10, v5, 12, v0
	s_wait_alu 0xfffd
	v_cndmask_b32_e64 v4, 0, 1, vcc_lo
	v_cmp_ne_u32_e32 vcc_lo, v6, v11
	v_lshl_or_b32 v11, v7, 12, v2
	s_delay_alu instid0(VALU_DEP_3) | instskip(SKIP_3) | instid1(VALU_DEP_2)
	v_or_b32_e32 v4, v12, v4
	s_wait_alu 0xfffd
	v_cndmask_b32_e64 v6, 0, 1, vcc_lo
	v_cmp_gt_i32_e32 vcc_lo, 1, v5
	v_or_b32_e32 v6, v13, v6
	s_wait_alu 0xfffd
	v_cndmask_b32_e32 v4, v10, v4, vcc_lo
	v_cmp_gt_i32_e32 vcc_lo, 1, v7
	s_delay_alu instid0(VALU_DEP_2) | instskip(SKIP_3) | instid1(VALU_DEP_3)
	v_and_b32_e32 v10, 7, v4
	s_wait_alu 0xfffd
	v_cndmask_b32_e32 v6, v11, v6, vcc_lo
	v_lshrrev_b32_e32 v4, 2, v4
	v_cmp_lt_i32_e32 vcc_lo, 5, v10
	v_cmp_eq_u32_e64 s0, 3, v10
	s_delay_alu instid0(VALU_DEP_1)
	s_or_b32 vcc_lo, s0, vcc_lo
	s_wait_alu 0xfffe
	v_add_co_ci_u32_e32 v4, vcc_lo, 0, v4, vcc_lo
	v_and_b32_e32 v11, 7, v6
	v_cmp_ne_u32_e32 vcc_lo, 0, v0
	v_lshrrev_b32_e32 v6, 2, v6
	s_delay_alu instid0(VALU_DEP_3) | instskip(SKIP_3) | instid1(VALU_DEP_2)
	v_cmp_lt_i32_e64 s1, 5, v11
	v_cmp_eq_u32_e64 s2, 3, v11
	s_wait_alu 0xfffd
	v_cndmask_b32_e64 v0, 0, 1, vcc_lo
	s_or_b32 vcc_lo, s2, s1
	s_delay_alu instid0(VALU_DEP_1)
	v_lshl_or_b32 v0, v0, 9, 0x7c00
	s_wait_alu 0xfffe
	v_add_co_ci_u32_e32 v6, vcc_lo, 0, v6, vcc_lo
	v_cmp_ne_u32_e32 vcc_lo, 0, v2
	s_wait_alu 0xfffd
	v_cndmask_b32_e64 v2, 0, 1, vcc_lo
	v_cmp_gt_i32_e32 vcc_lo, 31, v5
	s_delay_alu instid0(VALU_DEP_2)
	v_lshl_or_b32 v2, v2, 9, 0x7c00
	s_wait_alu 0xfffd
	v_cndmask_b32_e32 v4, 0x7c00, v4, vcc_lo
	v_cmp_gt_i32_e32 vcc_lo, 31, v7
	s_wait_alu 0xfffd
	v_cndmask_b32_e32 v6, 0x7c00, v6, vcc_lo
	v_cmp_eq_u32_e32 vcc_lo, 0x40f, v5
	s_wait_alu 0xfffd
	v_cndmask_b32_e32 v0, v4, v0, vcc_lo
	v_cmp_eq_u32_e32 vcc_lo, 0x40f, v7
	s_delay_alu instid0(VALU_DEP_2) | instskip(SKIP_2) | instid1(VALU_DEP_2)
	v_and_or_b32 v0, 0x8000, v1, v0
	s_wait_alu 0xfffd
	v_cndmask_b32_e32 v2, v6, v2, vcc_lo
	v_and_b32_e32 v0, 0xffff, v0
	s_delay_alu instid0(VALU_DEP_2) | instskip(NEXT) | instid1(VALU_DEP_1)
	v_and_or_b32 v1, 0x8000, v3, v2
	v_lshl_or_b32 v2, v1, 16, v0
	v_add_co_u32 v0, vcc_lo, v8, s22
	s_wait_alu 0xfffd
	v_add_co_ci_u32_e32 v1, vcc_lo, s23, v9, vcc_lo
	global_store_b32 v[0:1], v2, off
.LBB0_23:
	s_nop 0
	s_sendmsg sendmsg(MSG_DEALLOC_VGPRS)
	s_endpgm
	.section	.rodata,"a",@progbits
	.p2align	6, 0x0
	.amdhsa_kernel bluestein_single_fwd_len1001_dim1_half_op_CI_CI
		.amdhsa_group_segment_fixed_size 8008
		.amdhsa_private_segment_fixed_size 0
		.amdhsa_kernarg_size 104
		.amdhsa_user_sgpr_count 2
		.amdhsa_user_sgpr_dispatch_ptr 0
		.amdhsa_user_sgpr_queue_ptr 0
		.amdhsa_user_sgpr_kernarg_segment_ptr 1
		.amdhsa_user_sgpr_dispatch_id 0
		.amdhsa_user_sgpr_private_segment_size 0
		.amdhsa_wavefront_size32 1
		.amdhsa_uses_dynamic_stack 0
		.amdhsa_enable_private_segment 0
		.amdhsa_system_sgpr_workgroup_id_x 1
		.amdhsa_system_sgpr_workgroup_id_y 0
		.amdhsa_system_sgpr_workgroup_id_z 0
		.amdhsa_system_sgpr_workgroup_info 0
		.amdhsa_system_vgpr_workitem_id 0
		.amdhsa_next_free_vgpr 230
		.amdhsa_next_free_sgpr 26
		.amdhsa_reserve_vcc 1
		.amdhsa_float_round_mode_32 0
		.amdhsa_float_round_mode_16_64 0
		.amdhsa_float_denorm_mode_32 3
		.amdhsa_float_denorm_mode_16_64 3
		.amdhsa_fp16_overflow 0
		.amdhsa_workgroup_processor_mode 1
		.amdhsa_memory_ordered 1
		.amdhsa_forward_progress 0
		.amdhsa_round_robin_scheduling 0
		.amdhsa_exception_fp_ieee_invalid_op 0
		.amdhsa_exception_fp_denorm_src 0
		.amdhsa_exception_fp_ieee_div_zero 0
		.amdhsa_exception_fp_ieee_overflow 0
		.amdhsa_exception_fp_ieee_underflow 0
		.amdhsa_exception_fp_ieee_inexact 0
		.amdhsa_exception_int_div_zero 0
	.end_amdhsa_kernel
	.text
.Lfunc_end0:
	.size	bluestein_single_fwd_len1001_dim1_half_op_CI_CI, .Lfunc_end0-bluestein_single_fwd_len1001_dim1_half_op_CI_CI
                                        ; -- End function
	.section	.AMDGPU.csdata,"",@progbits
; Kernel info:
; codeLenInByte = 28244
; NumSgprs: 28
; NumVgprs: 230
; ScratchSize: 0
; MemoryBound: 0
; FloatMode: 240
; IeeeMode: 1
; LDSByteSize: 8008 bytes/workgroup (compile time only)
; SGPRBlocks: 3
; VGPRBlocks: 28
; NumSGPRsForWavesPerEU: 28
; NumVGPRsForWavesPerEU: 230
; Occupancy: 6
; WaveLimiterHint : 1
; COMPUTE_PGM_RSRC2:SCRATCH_EN: 0
; COMPUTE_PGM_RSRC2:USER_SGPR: 2
; COMPUTE_PGM_RSRC2:TRAP_HANDLER: 0
; COMPUTE_PGM_RSRC2:TGID_X_EN: 1
; COMPUTE_PGM_RSRC2:TGID_Y_EN: 0
; COMPUTE_PGM_RSRC2:TGID_Z_EN: 0
; COMPUTE_PGM_RSRC2:TIDIG_COMP_CNT: 0
	.text
	.p2alignl 7, 3214868480
	.fill 96, 4, 3214868480
	.type	__hip_cuid_643315bc137bfd4a,@object ; @__hip_cuid_643315bc137bfd4a
	.section	.bss,"aw",@nobits
	.globl	__hip_cuid_643315bc137bfd4a
__hip_cuid_643315bc137bfd4a:
	.byte	0                               ; 0x0
	.size	__hip_cuid_643315bc137bfd4a, 1

	.ident	"AMD clang version 19.0.0git (https://github.com/RadeonOpenCompute/llvm-project roc-6.4.0 25133 c7fe45cf4b819c5991fe208aaa96edf142730f1d)"
	.section	".note.GNU-stack","",@progbits
	.addrsig
	.addrsig_sym __hip_cuid_643315bc137bfd4a
	.amdgpu_metadata
---
amdhsa.kernels:
  - .args:
      - .actual_access:  read_only
        .address_space:  global
        .offset:         0
        .size:           8
        .value_kind:     global_buffer
      - .actual_access:  read_only
        .address_space:  global
        .offset:         8
        .size:           8
        .value_kind:     global_buffer
      - .actual_access:  read_only
        .address_space:  global
        .offset:         16
        .size:           8
        .value_kind:     global_buffer
      - .actual_access:  read_only
        .address_space:  global
        .offset:         24
        .size:           8
        .value_kind:     global_buffer
      - .actual_access:  read_only
        .address_space:  global
        .offset:         32
        .size:           8
        .value_kind:     global_buffer
      - .offset:         40
        .size:           8
        .value_kind:     by_value
      - .address_space:  global
        .offset:         48
        .size:           8
        .value_kind:     global_buffer
      - .address_space:  global
        .offset:         56
        .size:           8
        .value_kind:     global_buffer
      - .address_space:  global
        .offset:         64
        .size:           8
        .value_kind:     global_buffer
      - .address_space:  global
        .offset:         72
        .size:           8
        .value_kind:     global_buffer
      - .offset:         80
        .size:           4
        .value_kind:     by_value
      - .address_space:  global
        .offset:         88
        .size:           8
        .value_kind:     global_buffer
      - .address_space:  global
        .offset:         96
        .size:           8
        .value_kind:     global_buffer
    .group_segment_fixed_size: 8008
    .kernarg_segment_align: 8
    .kernarg_segment_size: 104
    .language:       OpenCL C
    .language_version:
      - 2
      - 0
    .max_flat_workgroup_size: 182
    .name:           bluestein_single_fwd_len1001_dim1_half_op_CI_CI
    .private_segment_fixed_size: 0
    .sgpr_count:     28
    .sgpr_spill_count: 0
    .symbol:         bluestein_single_fwd_len1001_dim1_half_op_CI_CI.kd
    .uniform_work_group_size: 1
    .uses_dynamic_stack: false
    .vgpr_count:     230
    .vgpr_spill_count: 0
    .wavefront_size: 32
    .workgroup_processor_mode: 1
amdhsa.target:   amdgcn-amd-amdhsa--gfx1201
amdhsa.version:
  - 1
  - 2
...

	.end_amdgpu_metadata
